;; amdgpu-corpus repo=ROCm/rocFFT kind=compiled arch=gfx950 opt=O3
	.text
	.amdgcn_target "amdgcn-amd-amdhsa--gfx950"
	.amdhsa_code_object_version 6
	.protected	fft_rtc_back_len160_factors_2_8_10_wgs_200_tpt_10_dim3_sp_ip_CI_sbcc_twdbase8_2step_dirReg_intrinsicReadWrite ; -- Begin function fft_rtc_back_len160_factors_2_8_10_wgs_200_tpt_10_dim3_sp_ip_CI_sbcc_twdbase8_2step_dirReg_intrinsicReadWrite
	.globl	fft_rtc_back_len160_factors_2_8_10_wgs_200_tpt_10_dim3_sp_ip_CI_sbcc_twdbase8_2step_dirReg_intrinsicReadWrite
	.p2align	8
	.type	fft_rtc_back_len160_factors_2_8_10_wgs_200_tpt_10_dim3_sp_ip_CI_sbcc_twdbase8_2step_dirReg_intrinsicReadWrite,@function
fft_rtc_back_len160_factors_2_8_10_wgs_200_tpt_10_dim3_sp_ip_CI_sbcc_twdbase8_2step_dirReg_intrinsicReadWrite: ; @fft_rtc_back_len160_factors_2_8_10_wgs_200_tpt_10_dim3_sp_ip_CI_sbcc_twdbase8_2step_dirReg_intrinsicReadWrite
; %bb.0:
	s_load_dwordx4 s[4:7], s[0:1], 0x10
	s_mov_b32 s3, 0
	s_waitcnt lgkmcnt(0)
	s_load_dwordx2 s[12:13], s[4:5], 0x8
	s_waitcnt lgkmcnt(0)
	s_add_u32 s8, s12, -1
	s_addc_u32 s9, s13, -1
	s_add_u32 s10, 0, 0xcccc3000
	s_addc_u32 s11, 0, 44
	s_mul_hi_u32 s15, s10, 0xffffffec
	s_add_i32 s11, s11, 0xccccca0
	s_sub_i32 s15, s15, s10
	s_mul_i32 s18, s11, 0xffffffec
	s_mul_i32 s14, s10, 0xffffffec
	s_add_i32 s15, s15, s18
	s_mul_hi_u32 s16, s11, s14
	s_mul_i32 s17, s11, s14
	s_mul_i32 s19, s10, s15
	s_mul_hi_u32 s14, s10, s14
	s_mul_hi_u32 s18, s10, s15
	s_add_u32 s14, s14, s19
	s_addc_u32 s18, 0, s18
	s_add_u32 s14, s14, s17
	s_mul_hi_u32 s19, s11, s15
	s_addc_u32 s14, s18, s16
	s_addc_u32 s16, s19, 0
	s_mul_i32 s15, s11, s15
	s_add_u32 s14, s14, s15
	v_mov_b32_e32 v1, s14
	s_addc_u32 s15, 0, s16
	v_add_co_u32_e32 v1, vcc, s10, v1
	s_cmp_lg_u64 vcc, 0
	s_addc_u32 s10, s11, s15
	v_readfirstlane_b32 s15, v1
	s_mul_i32 s14, s8, s10
	s_mul_hi_u32 s16, s8, s15
	s_mul_hi_u32 s11, s8, s10
	s_add_u32 s14, s16, s14
	s_addc_u32 s11, 0, s11
	s_mul_hi_u32 s17, s9, s15
	s_mul_i32 s15, s9, s15
	s_add_u32 s14, s14, s15
	s_mul_hi_u32 s16, s9, s10
	s_addc_u32 s11, s11, s17
	s_addc_u32 s14, s16, 0
	s_mul_i32 s10, s9, s10
	s_add_u32 s10, s11, s10
	s_addc_u32 s11, 0, s14
	s_add_u32 s14, s10, 1
	s_addc_u32 s15, s11, 0
	s_add_u32 s16, s10, 2
	s_mul_i32 s18, s11, 20
	s_mul_hi_u32 s19, s10, 20
	s_addc_u32 s17, s11, 0
	s_add_i32 s19, s19, s18
	s_mul_i32 s18, s10, 20
	v_mov_b32_e32 v1, s18
	v_sub_co_u32_e32 v1, vcc, s8, v1
	s_cmp_lg_u64 vcc, 0
	s_subb_u32 s8, s9, s19
	v_subrev_co_u32_e32 v2, vcc, 20, v1
	s_cmp_lg_u64 vcc, 0
	s_subb_u32 s9, s8, 0
	v_readfirstlane_b32 s18, v2
	s_cmp_gt_u32 s18, 19
	s_cselect_b32 s18, -1, 0
	s_cmp_eq_u32 s9, 0
	s_cselect_b32 s9, s18, -1
	s_cmp_lg_u32 s9, 0
	s_cselect_b32 s9, s16, s14
	s_cselect_b32 s14, s17, s15
	v_readfirstlane_b32 s15, v1
	s_cmp_gt_u32 s15, 19
	s_cselect_b32 s15, -1, 0
	s_cmp_eq_u32 s8, 0
	s_cselect_b32 s8, s15, -1
	s_cmp_lg_u32 s8, 0
	s_cselect_b32 s9, s9, s10
	s_cselect_b32 s8, s14, s11
	s_add_u32 s14, s9, 1
	s_addc_u32 s15, s8, 0
	v_mov_b64_e32 v[2:3], s[14:15]
	v_cmp_lt_u64_e32 vcc, s[2:3], v[2:3]
	s_mov_b64 s[18:19], 0
	s_cbranch_vccnz .LBB0_2
; %bb.1:
	v_cvt_f32_u32_e32 v1, s14
	s_sub_i32 s8, 0, s14
	s_mov_b32 s19, s3
	v_rcp_iflag_f32_e32 v1, v1
	s_nop 0
	v_mul_f32_e32 v1, 0x4f7ffffe, v1
	v_cvt_u32_f32_e32 v1, v1
	s_nop 0
	v_readfirstlane_b32 s9, v1
	s_mul_i32 s8, s8, s9
	s_mul_hi_u32 s8, s9, s8
	s_add_i32 s9, s9, s8
	s_mul_hi_u32 s8, s2, s9
	s_mul_i32 s10, s8, s14
	s_sub_i32 s10, s2, s10
	s_add_i32 s9, s8, 1
	s_sub_i32 s11, s10, s14
	s_cmp_ge_u32 s10, s14
	s_cselect_b32 s8, s9, s8
	s_cselect_b32 s10, s11, s10
	s_add_i32 s9, s8, 1
	s_cmp_ge_u32 s10, s14
	s_cselect_b32 s18, s9, s8
.LBB0_2:
	s_load_dwordx2 s[10:11], s[4:5], 0x10
	s_load_dwordx2 s[16:17], s[6:7], 0x8
	s_mov_b64 s[4:5], s[18:19]
	s_waitcnt lgkmcnt(0)
	v_mov_b64_e32 v[2:3], s[10:11]
	v_cmp_lt_u64_e32 vcc, s[18:19], v[2:3]
	s_cbranch_vccnz .LBB0_4
; %bb.3:
	v_cvt_f32_u32_e32 v1, s10
	s_sub_i32 s4, 0, s10
	v_rcp_iflag_f32_e32 v1, v1
	s_nop 0
	v_mul_f32_e32 v1, 0x4f7ffffe, v1
	v_cvt_u32_f32_e32 v1, v1
	s_nop 0
	v_readfirstlane_b32 s5, v1
	s_mul_i32 s4, s4, s5
	s_mul_hi_u32 s4, s5, s4
	s_add_i32 s5, s5, s4
	s_mul_hi_u32 s4, s18, s5
	s_mul_i32 s4, s4, s10
	s_sub_i32 s4, s18, s4
	s_sub_i32 s5, s4, s10
	s_cmp_ge_u32 s4, s10
	s_cselect_b32 s4, s5, s4
	s_sub_i32 s5, s4, s10
	s_cmp_ge_u32 s4, s10
	s_cselect_b32 s4, s5, s4
.LBB0_4:
	s_mul_i32 s5, s10, s15
	s_mul_hi_u32 s17, s10, s14
	s_add_i32 s5, s17, s5
	s_mul_i32 s11, s11, s14
	s_load_dwordx2 s[8:9], s[0:1], 0x50
	s_add_i32 s23, s5, s11
	s_mul_i32 s22, s10, s14
	s_load_dwordx2 s[10:11], s[6:7], 0x0
	s_load_dwordx2 s[20:21], s[6:7], 0x10
	v_mov_b64_e32 v[2:3], s[22:23]
	v_cmp_lt_u64_e32 vcc, s[2:3], v[2:3]
	s_mov_b64 s[24:25], 0
	s_cbranch_vccnz .LBB0_6
; %bb.5:
	v_cvt_f32_u32_e32 v1, s22
	s_sub_i32 s3, 0, s22
	v_rcp_iflag_f32_e32 v1, v1
	s_nop 0
	v_mul_f32_e32 v1, 0x4f7ffffe, v1
	v_cvt_u32_f32_e32 v1, v1
	s_nop 0
	v_readfirstlane_b32 s5, v1
	s_mul_i32 s3, s3, s5
	s_mul_hi_u32 s3, s5, s3
	s_add_i32 s5, s5, s3
	s_mul_hi_u32 s3, s2, s5
	s_waitcnt lgkmcnt(0)
	s_mul_i32 s11, s3, s22
	s_sub_i32 s11, s2, s11
	s_add_i32 s5, s3, 1
	s_sub_i32 s17, s11, s22
	s_cmp_ge_u32 s11, s22
	s_cselect_b32 s3, s5, s3
	s_cselect_b32 s11, s17, s11
	s_add_i32 s5, s3, 1
	s_cmp_ge_u32 s11, s22
	s_cselect_b32 s24, s5, s3
.LBB0_6:
	s_mul_i32 s3, s18, s15
	s_mul_hi_u32 s5, s18, s14
	s_add_i32 s5, s5, s3
	s_mul_i32 s3, s18, s14
	s_sub_u32 s14, s2, s3
	s_subb_u32 s2, 0, s5
	s_mul_i32 s5, s2, 20
	s_mul_hi_u32 s2, s14, 20
	s_add_i32 s15, s2, s5
	s_load_dwordx2 s[2:3], s[6:7], 0x18
	v_mul_u32_u24_e32 v1, 0xccd, v0
	s_mul_i32 s6, s14, 20
	v_lshrrev_b32_e32 v1, 16, v1
	s_waitcnt lgkmcnt(0)
	s_mul_i32 s3, s16, s6
	s_mul_i32 s4, s20, s4
	v_mul_lo_u16_e32 v2, 20, v1
	s_add_u32 s3, s4, s3
	s_mul_i32 s2, s2, s24
	v_sub_u16_e32 v2, v0, v2
	v_mov_b32_e32 v3, 0
	s_add_u32 s11, s2, s3
	v_mad_u64_u32 v[54:55], s[2:3], s14, 20, v[2:3]
	s_add_u32 s2, s6, 20
	s_addc_u32 s3, s15, 0
	v_mov_b64_e32 v[4:5], s[12:13]
	v_add_u32_e32 v55, s5, v55
	v_cmp_le_u64_e32 vcc, s[2:3], v[4:5]
	v_mad_u64_u32 v[58:59], s[2:3], s16, v2, 0
	v_cmp_gt_u64_e64 s[2:3], s[12:13], v[54:55]
	s_or_b64 s[6:7], vcc, s[2:3]
	v_mov_b32_e32 v4, 0
	v_mov_b32_e32 v5, 0
	s_and_saveexec_b64 s[4:5], s[6:7]
	s_cbranch_execz .LBB0_8
; %bb.7:
	v_mul_lo_u32 v4, s10, v1
	v_add3_u32 v4, s11, v58, v4
	v_mov_b32_e32 v5, v3
	v_lshl_add_u64 v[4:5], v[4:5], 3, s[8:9]
	global_load_dwordx2 v[4:5], v[4:5], off
.LBB0_8:
	s_or_b64 exec, exec, s[4:5]
	v_mov_b32_e32 v7, 0
	s_and_saveexec_b64 s[4:5], s[6:7]
	s_cbranch_execz .LBB0_10
; %bb.9:
	v_or_b32_e32 v3, 0x50, v1
	v_mul_lo_u32 v3, s10, v3
	v_add3_u32 v6, s11, v58, v3
	v_mov_b32_e32 v7, 0
	v_lshl_add_u64 v[6:7], v[6:7], 3, s[8:9]
	global_load_dwordx2 v[6:7], v[6:7], off
	s_waitcnt vmcnt(0)
	v_mov_b32_e32 v3, v6
.LBB0_10:
	s_or_b64 exec, exec, s[4:5]
	v_add_u32_e32 v138, 10, v1
	v_mov_b32_e32 v10, 0
	v_mov_b32_e32 v8, 0
	;; [unrolled: 1-line block ×3, first 2 shown]
	s_and_saveexec_b64 s[4:5], s[6:7]
	s_cbranch_execz .LBB0_12
; %bb.11:
	v_mul_lo_u32 v6, s10, v138
	v_add3_u32 v8, s11, v58, v6
	v_mov_b32_e32 v9, 0
	v_lshl_add_u64 v[8:9], v[8:9], 3, s[8:9]
	global_load_dwordx2 v[8:9], v[8:9], off
.LBB0_12:
	s_or_b64 exec, exec, s[4:5]
	v_mov_b32_e32 v11, 0
	s_and_saveexec_b64 s[4:5], s[6:7]
	s_cbranch_execz .LBB0_14
; %bb.13:
	v_add_u32_e32 v6, 0x5a, v1
	v_mul_lo_u32 v6, s10, v6
	v_add3_u32 v10, s11, v58, v6
	v_mov_b32_e32 v11, 0
	v_lshl_add_u64 v[10:11], v[10:11], 3, s[8:9]
	global_load_dwordx2 v[10:11], v[10:11], off
.LBB0_14:
	s_or_b64 exec, exec, s[4:5]
	v_add_u32_e32 v36, 20, v1
	v_mov_b32_e32 v14, 0
	v_mov_b32_e32 v12, 0
	;; [unrolled: 1-line block ×3, first 2 shown]
	s_and_saveexec_b64 s[4:5], s[6:7]
	s_cbranch_execz .LBB0_16
; %bb.15:
	v_mul_lo_u32 v6, s10, v36
	v_add3_u32 v12, s11, v58, v6
	v_mov_b32_e32 v13, 0
	v_lshl_add_u64 v[12:13], v[12:13], 3, s[8:9]
	global_load_dwordx2 v[12:13], v[12:13], off
.LBB0_16:
	s_or_b64 exec, exec, s[4:5]
	v_mov_b32_e32 v15, 0
	s_and_saveexec_b64 s[4:5], s[6:7]
	s_cbranch_execz .LBB0_18
; %bb.17:
	v_add_u32_e32 v6, 0x64, v1
	v_mul_lo_u32 v6, s10, v6
	v_add3_u32 v14, s11, v58, v6
	v_mov_b32_e32 v15, 0
	v_lshl_add_u64 v[14:15], v[14:15], 3, s[8:9]
	global_load_dwordx2 v[14:15], v[14:15], off
.LBB0_18:
	s_or_b64 exec, exec, s[4:5]
	v_mov_b32_e32 v18, 0
	v_mov_b32_e32 v16, 0
	;; [unrolled: 1-line block ×3, first 2 shown]
	s_and_saveexec_b64 s[4:5], s[6:7]
	s_cbranch_execz .LBB0_20
; %bb.19:
	v_add_u32_e32 v6, 30, v1
	v_mul_lo_u32 v6, s10, v6
	v_add3_u32 v16, s11, v58, v6
	v_mov_b32_e32 v17, 0
	v_lshl_add_u64 v[16:17], v[16:17], 3, s[8:9]
	global_load_dwordx2 v[16:17], v[16:17], off
.LBB0_20:
	s_or_b64 exec, exec, s[4:5]
	v_mov_b32_e32 v19, 0
	s_and_saveexec_b64 s[4:5], s[6:7]
	s_cbranch_execz .LBB0_22
; %bb.21:
	v_add_u32_e32 v6, 0x6e, v1
	v_mul_lo_u32 v6, s10, v6
	v_add3_u32 v18, s11, v58, v6
	v_mov_b32_e32 v19, 0
	v_lshl_add_u64 v[18:19], v[18:19], 3, s[8:9]
	global_load_dwordx2 v[18:19], v[18:19], off
.LBB0_22:
	s_or_b64 exec, exec, s[4:5]
	v_add_u32_e32 v37, 40, v1
	v_mov_b32_e32 v22, 0
	v_mov_b32_e32 v20, 0
	;; [unrolled: 1-line block ×3, first 2 shown]
	s_and_saveexec_b64 s[4:5], s[6:7]
	s_cbranch_execz .LBB0_24
; %bb.23:
	v_mul_lo_u32 v6, s10, v37
	v_add3_u32 v20, s11, v58, v6
	v_mov_b32_e32 v21, 0
	v_lshl_add_u64 v[20:21], v[20:21], 3, s[8:9]
	global_load_dwordx2 v[20:21], v[20:21], off
.LBB0_24:
	s_or_b64 exec, exec, s[4:5]
	v_mov_b32_e32 v23, 0
	s_and_saveexec_b64 s[4:5], s[6:7]
	s_cbranch_execz .LBB0_26
; %bb.25:
	v_add_u32_e32 v6, 0x78, v1
	v_mul_lo_u32 v6, s10, v6
	v_add3_u32 v22, s11, v58, v6
	v_mov_b32_e32 v23, 0
	v_lshl_add_u64 v[22:23], v[22:23], 3, s[8:9]
	global_load_dwordx2 v[22:23], v[22:23], off
.LBB0_26:
	s_or_b64 exec, exec, s[4:5]
	v_mov_b32_e32 v26, 0
	v_mov_b32_e32 v24, 0
	;; [unrolled: 1-line block ×3, first 2 shown]
	s_and_saveexec_b64 s[4:5], s[6:7]
	s_cbranch_execz .LBB0_28
; %bb.27:
	v_add_u32_e32 v6, 50, v1
	v_mul_lo_u32 v6, s10, v6
	v_add3_u32 v24, s11, v58, v6
	v_mov_b32_e32 v25, 0
	v_lshl_add_u64 v[24:25], v[24:25], 3, s[8:9]
	global_load_dwordx2 v[24:25], v[24:25], off
.LBB0_28:
	s_or_b64 exec, exec, s[4:5]
	v_mov_b32_e32 v27, 0
	s_and_saveexec_b64 s[4:5], s[6:7]
	s_cbranch_execz .LBB0_30
; %bb.29:
	v_add_u32_e32 v6, 0x82, v1
	v_mul_lo_u32 v6, s10, v6
	v_add3_u32 v26, s11, v58, v6
	v_mov_b32_e32 v27, 0
	v_lshl_add_u64 v[26:27], v[26:27], 3, s[8:9]
	global_load_dwordx2 v[26:27], v[26:27], off
.LBB0_30:
	s_or_b64 exec, exec, s[4:5]
	v_add_u32_e32 v38, 60, v1
	v_mov_b32_e32 v30, 0
	v_mov_b32_e32 v28, 0
	v_mov_b32_e32 v29, 0
	s_and_saveexec_b64 s[4:5], s[6:7]
	s_cbranch_execz .LBB0_32
; %bb.31:
	v_mul_lo_u32 v6, s10, v38
	v_add3_u32 v28, s11, v58, v6
	v_mov_b32_e32 v29, 0
	v_lshl_add_u64 v[28:29], v[28:29], 3, s[8:9]
	global_load_dwordx2 v[28:29], v[28:29], off
.LBB0_32:
	s_or_b64 exec, exec, s[4:5]
	v_mov_b32_e32 v31, 0
	s_and_saveexec_b64 s[4:5], s[6:7]
	s_cbranch_execz .LBB0_34
; %bb.33:
	v_add_u32_e32 v6, 0x8c, v1
	v_mul_lo_u32 v6, s10, v6
	v_add3_u32 v30, s11, v58, v6
	v_mov_b32_e32 v31, 0
	v_lshl_add_u64 v[30:31], v[30:31], 3, s[8:9]
	global_load_dwordx2 v[30:31], v[30:31], off
.LBB0_34:
	s_or_b64 exec, exec, s[4:5]
	s_load_dwordx2 s[12:13], s[0:1], 0x0
	v_mov_b32_e32 v34, 0
	v_mov_b32_e32 v32, 0
	;; [unrolled: 1-line block ×3, first 2 shown]
	s_and_saveexec_b64 s[4:5], s[6:7]
	s_cbranch_execz .LBB0_36
; %bb.35:
	v_add_u32_e32 v6, 0x46, v1
	v_mul_lo_u32 v6, s10, v6
	v_add3_u32 v32, s11, v58, v6
	v_mov_b32_e32 v33, 0
	v_lshl_add_u64 v[32:33], v[32:33], 3, s[8:9]
	global_load_dwordx2 v[32:33], v[32:33], off
.LBB0_36:
	s_or_b64 exec, exec, s[4:5]
	v_mov_b32_e32 v35, 0
	s_and_saveexec_b64 s[4:5], s[6:7]
	s_cbranch_execz .LBB0_38
; %bb.37:
	v_add_u32_e32 v6, 0x96, v1
	v_mul_lo_u32 v6, s10, v6
	v_add3_u32 v34, s11, v58, v6
	v_mov_b32_e32 v35, 0
	v_lshl_add_u64 v[34:35], v[34:35], 3, s[8:9]
	global_load_dwordx2 v[34:35], v[34:35], off
.LBB0_38:
	s_or_b64 exec, exec, s[4:5]
	v_mov_b32_e32 v6, v3
	s_waitcnt vmcnt(0)
	v_pk_add_f32 v[6:7], v[4:5], v[6:7] neg_lo:[0,1] neg_hi:[0,1]
	v_mul_u32_u24_e32 v3, 0x140, v1
	v_lshlrev_b32_e32 v55, 3, v2
	v_pk_add_f32 v[10:11], v[8:9], v[10:11] neg_lo:[0,1] neg_hi:[0,1]
	v_add3_u32 v39, 0, v3, v55
	v_pk_fma_f32 v[2:3], v[4:5], 2.0, v[6:7] op_sel_hi:[1,0,1] neg_lo:[0,0,1] neg_hi:[0,0,1]
	v_pk_add_f32 v[14:15], v[12:13], v[14:15] neg_lo:[0,1] neg_hi:[0,1]
	ds_write2_b64 v39, v[2:3], v[6:7] offset1:20
	v_pk_fma_f32 v[2:3], v[8:9], 2.0, v[10:11] op_sel_hi:[1,0,1] neg_lo:[0,0,1] neg_hi:[0,0,1]
	v_add_u32_e32 v4, 0x800, v39
	v_pk_add_f32 v[18:19], v[16:17], v[18:19] neg_lo:[0,1] neg_hi:[0,1]
	ds_write2_b64 v4, v[2:3], v[10:11] offset0:144 offset1:164
	v_pk_fma_f32 v[2:3], v[12:13], 2.0, v[14:15] op_sel_hi:[1,0,1] neg_lo:[0,0,1] neg_hi:[0,0,1]
	v_add_u32_e32 v4, 0x1800, v39
	v_pk_add_f32 v[22:23], v[20:21], v[22:23] neg_lo:[0,1] neg_hi:[0,1]
	ds_write2_b64 v4, v[2:3], v[14:15] offset0:32 offset1:52
	;; [unrolled: 4-line block ×5, first 2 shown]
	v_pk_fma_f32 v[2:3], v[28:29], 2.0, v[30:31] op_sel_hi:[1,0,1] neg_lo:[0,0,1] neg_hi:[0,0,1]
	v_add_u32_e32 v4, 0x4800, v39
	ds_write2_b64 v4, v[2:3], v[30:31] offset0:96 offset1:116
	v_pk_fma_f32 v[2:3], v[32:33], 2.0, v[34:35] op_sel_hi:[1,0,1] neg_lo:[0,0,1] neg_hi:[0,0,1]
	v_add_u32_e32 v4, 0x5400, v39
	ds_write2_b64 v4, v[2:3], v[34:35] offset0:112 offset1:132
	v_and_b32_e32 v2, 1, v1
	v_mul_u32_u24_e32 v2, 7, v2
	v_lshlrev_b32_e32 v16, 3, v2
	s_waitcnt lgkmcnt(0)
	s_barrier
	global_load_dwordx4 v[8:11], v16, s[12:13]
	global_load_dwordx4 v[12:15], v16, s[12:13] offset:16
	global_load_dwordx4 v[2:5], v16, s[12:13] offset:32
	global_load_dwordx2 v[6:7], v16, s[12:13] offset:48
	s_movk_i32 s4, 0xff60
	v_mul_i32_i24_e32 v16, 0xffffff60, v36
	s_movk_i32 s5, 0x1900
	v_mul_i32_i24_e32 v17, 0xffffff60, v37
	s_movk_i32 s14, 0x3200
	v_mul_i32_i24_e32 v19, 0xffffff60, v38
	s_movk_i32 s15, 0x4b00
	v_mad_i32_i24 v18, v1, s4, v39
	v_add3_u32 v16, v39, s5, v16
	v_add3_u32 v20, v39, s14, v17
	;; [unrolled: 1-line block ×3, first 2 shown]
	ds_read_b64 v[16:17], v16
	ds_read_b64 v[28:29], v20
	;; [unrolled: 1-line block ×3, first 2 shown]
	v_add_u32_e32 v20, 0x2b00, v18
	v_add_u32_e32 v24, 0x3800, v18
	ds_read_b64 v[32:33], v18 offset:4800
	ds_read_b64 v[34:35], v18 offset:8000
	;; [unrolled: 1-line block ×3, first 2 shown]
	ds_read_b64 v[38:39], v18
	ds_read2_b64 v[20:23], v20 offset0:24 offset1:224
	ds_read2_b64 v[24:27], v24 offset0:8 offset1:208
	s_waitcnt lgkmcnt(5)
	v_mov_b32_e32 v40, v33
	s_waitcnt lgkmcnt(4)
	v_mov_b32_e32 v42, v35
	s_mov_b32 s4, 0x3f3504f3
	s_waitcnt vmcnt(3)
	v_mov_b32_e32 v46, v9
	v_pk_mul_f32 v[62:63], v[8:9], v[16:17] op_sel:[0,1]
	v_pk_mul_f32 v[44:45], v[32:33], v[8:9]
	v_pk_mul_f32 v[40:41], v[40:41], v[8:9]
	v_mov_b32_e32 v50, v11
	v_pk_mul_f32 v[32:33], v[32:33], v[46:47]
	v_pk_fma_f32 v[46:47], v[8:9], v[16:17], v[62:63] op_sel:[0,0,1] op_sel_hi:[1,1,0]
	v_pk_fma_f32 v[16:17], v[8:9], v[16:17], v[62:63] op_sel:[0,0,1] op_sel_hi:[1,0,0] neg_lo:[1,0,0] neg_hi:[1,0,0]
	s_waitcnt vmcnt(2)
	v_mov_b32_e32 v8, v15
	v_pk_mul_f32 v[48:49], v[34:35], v[10:11]
	v_pk_mul_f32 v[34:35], v[34:35], v[50:51]
	s_waitcnt lgkmcnt(0)
	v_pk_mul_f32 v[8:9], v[24:25], v[8:9] op_sel:[1,0] op_sel_hi:[0,1]
	v_pk_fma_f32 v[34:35], v[42:43], v[10:11], v[34:35] neg_lo:[0,0,1] neg_hi:[0,0,1]
	v_pk_fma_f32 v[42:43], v[24:25], v[14:15], v[8:9]
	v_mov_b32_e32 v8, v15
	v_mov_b32_e32 v56, v13
	v_pk_mul_f32 v[8:9], v[22:23], v[8:9] op_sel_hi:[1,0]
	v_pk_mul_f32 v[52:53], v[20:21], v[12:13]
	v_pk_mul_f32 v[60:61], v[20:21], v[12:13] op_sel:[1,0] op_sel_hi:[0,1]
	v_pk_mul_f32 v[20:21], v[20:21], v[56:57] op_sel:[1,0] op_sel_hi:[0,1]
	v_pk_fma_f32 v[56:57], v[22:23], v[14:15], v[8:9] op_sel:[0,0,1] op_sel_hi:[1,1,0]
	v_pk_fma_f32 v[22:23], v[22:23], v[14:15], v[8:9] op_sel:[0,0,1] op_sel_hi:[1,0,0] neg_lo:[0,0,1] neg_hi:[0,0,1]
	v_pk_mul_f32 v[8:9], v[12:13], v[30:31] op_sel:[0,1]
	v_pk_mul_f32 v[64:65], v[10:11], v[28:29] op_sel:[0,1]
	v_pk_fma_f32 v[62:63], v[12:13], v[30:31], v[8:9] op_sel:[0,0,1] op_sel_hi:[1,1,0]
	v_pk_fma_f32 v[30:31], v[12:13], v[30:31], v[8:9] op_sel:[0,0,1] op_sel_hi:[1,0,0] neg_lo:[1,0,0] neg_hi:[1,0,0]
	v_pk_mul_f32 v[8:9], v[24:25], v[14:15] op_sel:[1,0] op_sel_hi:[0,1]
	v_mov_b32_e32 v13, v8
	v_add_u32_e32 v8, 0x5000, v18
	v_pk_fma_f32 v[50:51], v[10:11], v[28:29], v[64:65] op_sel:[0,0,1] op_sel_hi:[1,1,0]
	v_pk_fma_f32 v[28:29], v[10:11], v[28:29], v[64:65] op_sel:[0,0,1] op_sel_hi:[1,0,0] neg_lo:[1,0,0] neg_hi:[1,0,0]
	ds_read2_b64 v[8:11], v8 offset0:40 offset1:240
	v_pk_fma_f32 v[24:25], v[24:25], v[14:15], v[12:13] op_sel:[1,0,0] op_sel_hi:[0,1,1] neg_lo:[1,0,0] neg_hi:[1,0,0]
	s_waitcnt vmcnt(1)
	v_pk_mul_f32 v[12:13], v[26:27], v[2:3] op_sel:[0,1]
	v_mov_b32_e32 v14, v48
	v_pk_fma_f32 v[64:65], v[26:27], v[2:3], v[12:13] op_sel:[0,0,1] op_sel_hi:[1,1,0]
	v_pk_fma_f32 v[26:27], v[26:27], v[2:3], v[12:13] op_sel:[0,0,1] op_sel_hi:[1,0,0] neg_lo:[0,0,1] neg_hi:[0,0,1]
	s_waitcnt lgkmcnt(0)
	v_pk_mul_f32 v[12:13], v[8:9], v[4:5]
	v_mov_b32_e32 v53, v44
	v_mov_b32_e32 v15, v12
	;; [unrolled: 1-line block ×3, first 2 shown]
	v_pk_add_f32 v[48:49], v[14:15], v[12:13]
	v_mov_b32_e32 v12, v5
	v_pk_mul_f32 v[12:13], v[8:9], v[12:13]
	v_mov_b32_e32 v8, v9
	v_pk_fma_f32 v[8:9], v[8:9], v[4:5], v[12:13] neg_lo:[0,0,1] neg_hi:[0,0,1]
	v_mov_b32_e32 v21, v45
	v_add_u32_e32 v9, 0x4400, v18
	ds_read2_b64 v[12:15], v9 offset0:24 offset1:224
	v_mov_b32_e32 v41, v60
	v_mov_b32_e32 v33, v61
	s_waitcnt vmcnt(0)
	v_mov_b32_e32 v16, v7
	v_pk_add_f32 v[20:21], v[52:53], v[20:21]
	v_pk_add_f32 v[32:33], v[40:41], v[32:33] neg_lo:[0,1] neg_hi:[0,1]
	v_pk_mul_f32 v[40:41], v[36:37], v[16:17] op_sel:[1,0] op_sel_hi:[0,1]
	s_waitcnt lgkmcnt(0)
	v_pk_mul_f32 v[44:45], v[12:13], v[2:3]
	v_pk_mul_f32 v[52:53], v[36:37], v[6:7]
	v_mov_b32_e32 v16, v13
	v_mov_b32_e32 v53, v44
	v_mov_b32_e32 v41, v45
	v_pk_mul_f32 v[44:45], v[16:17], v[2:3]
	v_mov_b32_e32 v2, v3
	v_pk_mul_f32 v[2:3], v[12:13], v[2:3]
	v_pk_mul_f32 v[12:13], v[36:37], v[6:7] op_sel:[1,0] op_sel_hi:[0,1]
	v_mov_b32_e32 v45, v12
	v_mov_b32_e32 v3, v13
	v_pk_add_f32 v[40:41], v[52:53], v[40:41]
	v_pk_add_f32 v[2:3], v[44:45], v[2:3] neg_lo:[0,1] neg_hi:[0,1]
	v_pk_add_f32 v[12:13], v[20:21], v[40:41] neg_lo:[0,1] neg_hi:[0,1]
	;; [unrolled: 1-line block ×3, first 2 shown]
	v_mov_b32_e32 v43, v25
	v_pk_add_f32 v[36:37], v[2:3], v[12:13] neg_lo:[0,1] neg_hi:[0,1]
	v_pk_add_f32 v[40:41], v[2:3], v[12:13]
	v_fma_f32 v25, v20, 2.0, -v12
	v_add_u32_e32 v12, 0xffffe0c0, v19
	v_mov_b32_e32 v22, v5
	v_mov_b32_e32 v51, v29
	ds_read_b64 v[28:29], v12
	v_mov_b32_e32 v57, v23
	v_pk_mul_f32 v[22:23], v[14:15], v[22:23] op_sel_hi:[1,0]
	v_mov_b32_e32 v65, v27
	v_pk_fma_f32 v[26:27], v[14:15], v[4:5], v[22:23] op_sel:[0,0,1] op_sel_hi:[1,1,0]
	v_pk_fma_f32 v[4:5], v[14:15], v[4:5], v[22:23] op_sel:[0,0,1] op_sel_hi:[1,0,0] neg_lo:[0,0,1] neg_hi:[0,0,1]
	v_mov_b32_e32 v47, v17
	v_mov_b32_e32 v27, v5
	v_pk_mul_f32 v[4:5], v[10:11], v[6:7] op_sel:[0,1]
	v_mov_b32_e32 v63, v31
	v_pk_fma_f32 v[14:15], v[10:11], v[6:7], v[4:5] op_sel:[0,0,1] op_sel_hi:[1,1,0]
	v_pk_fma_f32 v[4:5], v[10:11], v[6:7], v[4:5] op_sel:[0,0,1] op_sel_hi:[1,0,0] neg_lo:[0,0,1] neg_hi:[0,0,1]
	v_pk_add_f32 v[10:11], v[50:51], v[26:27] neg_lo:[0,1] neg_hi:[0,1]
	v_mov_b32_e32 v15, v5
	v_pk_add_f32 v[4:5], v[38:39], v[56:57] neg_lo:[0,1] neg_hi:[0,1]
	v_mov_b32_e32 v37, v41
	v_fma_f32 v24, v33, 2.0, -v3
	v_mov_b32_e32 v3, v13
	s_waitcnt lgkmcnt(0)
	v_pk_add_f32 v[30:31], v[28:29], v[42:43] neg_lo:[0,1] neg_hi:[0,1]
	v_pk_fma_f32 v[22:23], v[50:51], 2.0, v[10:11] op_sel_hi:[1,0,1] neg_lo:[0,0,1] neg_hi:[0,0,1]
	v_pk_add_f32 v[26:27], v[46:47], v[64:65] neg_lo:[0,1] neg_hi:[0,1]
	v_pk_add_f32 v[14:15], v[62:63], v[14:15] neg_lo:[0,1] neg_hi:[0,1]
	v_pk_add_f32 v[42:43], v[4:5], v[10:11] op_sel:[0,1] op_sel_hi:[1,0]
	v_pk_add_f32 v[10:11], v[4:5], v[10:11] op_sel:[0,1] op_sel_hi:[1,0] neg_lo:[0,1] neg_hi:[0,1]
	v_mov_b32_e32 v20, v21
	v_mov_b32_e32 v21, v32
	;; [unrolled: 1-line block ×4, first 2 shown]
	v_pk_fma_f32 v[2:3], v[2:3], 2.0, v[36:37] op_sel_hi:[1,0,1] neg_lo:[0,0,1] neg_hi:[0,0,1]
	v_pk_fma_f32 v[40:41], v[62:63], 2.0, v[14:15] op_sel_hi:[1,0,1] neg_lo:[0,0,1] neg_hi:[0,0,1]
	v_mov_b32_e32 v43, v11
	v_pk_add_f32 v[10:11], v[26:27], v[14:15] op_sel:[0,1] op_sel_hi:[1,0]
	v_pk_add_f32 v[14:15], v[26:27], v[14:15] op_sel:[0,1] op_sel_hi:[1,0] neg_lo:[0,1] neg_hi:[0,1]
	v_pk_fma_f32 v[20:21], v[20:21], 2.0, v[32:33] op_sel_hi:[1,0,1] neg_lo:[0,0,1] neg_hi:[0,0,1]
	v_pk_mul_f32 v[32:33], v[2:3], s[4:5] op_sel_hi:[1,0]
	v_pk_mul_f32 v[16:17], v[36:37], s[4:5] op_sel_hi:[1,0]
	v_lshlrev_b32_e32 v9, 3, v1
	s_movk_i32 s5, 0x71
	v_mov_b32_e32 v11, v15
	v_bitop3_b32 v9, v9, s5, v1 bitop3:0xc8
	s_movk_i32 s5, 0xf1
	v_pk_fma_f32 v[6:7], v[38:39], 2.0, v[4:5] op_sel_hi:[1,0,1] neg_lo:[0,0,1] neg_hi:[0,0,1]
	v_pk_fma_f32 v[38:39], v[46:47], 2.0, v[26:27] op_sel_hi:[1,0,1] neg_lo:[0,0,1] neg_hi:[0,0,1]
	;; [unrolled: 1-line block ×4, first 2 shown]
	v_pk_add_f32 v[22:23], v[6:7], v[22:23] neg_lo:[0,1] neg_hi:[0,1]
	v_pk_add_f32 v[40:41], v[38:39], v[40:41] neg_lo:[0,1] neg_hi:[0,1]
	v_pk_mul_f32 v[26:27], v[14:15], s[4:5] op_sel_hi:[1,0]
	v_pk_fma_f32 v[14:15], v[14:15], s[4:5], v[4:5] op_sel_hi:[1,0,1] neg_lo:[1,0,0] neg_hi:[1,0,0]
	v_pk_fma_f32 v[6:7], v[6:7], 2.0, v[22:23] op_sel_hi:[1,0,1] neg_lo:[0,0,1] neg_hi:[0,0,1]
	v_pk_fma_f32 v[38:39], v[38:39], 2.0, v[40:41] op_sel_hi:[1,0,1] neg_lo:[0,0,1] neg_hi:[0,0,1]
	v_pk_add_f32 v[44:45], v[14:15], v[26:27] op_sel:[0,1] op_sel_hi:[1,0]
	v_pk_add_f32 v[14:15], v[14:15], v[26:27] op_sel:[0,1] op_sel_hi:[1,0] neg_lo:[0,1] neg_hi:[0,1]
	v_mul_u32_u24_e32 v9, 0xa0, v9
	v_pk_add_f32 v[38:39], v[6:7], v[38:39] neg_lo:[0,1] neg_hi:[0,1]
	v_mov_b32_e32 v45, v15
	v_add3_u32 v9, 0, v9, v55
	v_pk_fma_f32 v[6:7], v[6:7], 2.0, v[38:39] op_sel_hi:[1,0,1] neg_lo:[0,0,1] neg_hi:[0,0,1]
	v_pk_fma_f32 v[4:5], v[4:5], 2.0, v[44:45] op_sel_hi:[1,0,1] neg_lo:[0,0,1] neg_hi:[0,0,1]
	s_barrier
	ds_write2_b64 v9, v[6:7], v[4:5] offset1:40
	v_pk_add_f32 v[4:5], v[22:23], v[40:41] op_sel:[0,1] op_sel_hi:[1,0]
	v_pk_add_f32 v[6:7], v[22:23], v[40:41] op_sel:[0,1] op_sel_hi:[1,0] neg_lo:[0,1] neg_hi:[0,1]
	v_pk_mul_f32 v[14:15], v[10:11], s[4:5] op_sel_hi:[1,0]
	v_mov_b32_e32 v5, v7
	v_pk_fma_f32 v[10:11], v[10:11], s[4:5], v[42:43] op_sel_hi:[1,0,1]
	v_pk_fma_f32 v[6:7], v[22:23], 2.0, v[4:5] op_sel_hi:[1,0,1] neg_lo:[0,0,1] neg_hi:[0,0,1]
	v_pk_add_f32 v[22:23], v[10:11], v[14:15] op_sel:[0,1] op_sel_hi:[1,0]
	v_pk_add_f32 v[10:11], v[10:11], v[14:15] op_sel:[0,1] op_sel_hi:[1,0] neg_lo:[0,1] neg_hi:[0,1]
	v_mov_b32_e32 v35, v48
	v_mov_b32_e32 v23, v11
	v_pk_fma_f32 v[10:11], v[42:43], 2.0, v[22:23] op_sel_hi:[1,0,1] neg_lo:[0,0,1] neg_hi:[0,0,1]
	ds_write2_b64 v9, v[6:7], v[10:11] offset0:80 offset1:120
	ds_write2_b64 v9, v[38:39], v[44:45] offset0:160 offset1:200
	v_add_u32_e32 v6, 0x400, v9
	v_mov_b32_e32 v9, v49
	ds_write2_b64 v6, v[4:5], v[22:23] offset0:112 offset1:152
	v_pk_add_f32 v[4:5], v[34:35], v[8:9] neg_lo:[0,1] neg_hi:[0,1]
	v_pk_fma_f32 v[28:29], v[28:29], 2.0, v[30:31] op_sel_hi:[1,0,1] neg_lo:[0,0,1] neg_hi:[0,0,1]
	v_fma_f32 v6, v48, 2.0, -v5
	v_fma_f32 v7, v34, 2.0, -v4
	v_pk_add_f32 v[14:15], v[30:31], v[4:5]
	v_pk_add_f32 v[4:5], v[30:31], v[4:5] neg_lo:[0,1] neg_hi:[0,1]
	v_lshlrev_b32_e32 v13, 3, v138
	v_mov_b32_e32 v15, v5
	v_pk_fma_f32 v[4:5], v[30:31], 2.0, v[14:15] op_sel_hi:[1,0,1] neg_lo:[0,0,1] neg_hi:[0,0,1]
	v_pk_add_f32 v[24:25], v[20:21], v[24:25] op_sel:[1,0] op_sel_hi:[0,1] neg_lo:[0,1] neg_hi:[0,1]
	v_pk_add_f32 v[8:9], v[4:5], v[32:33] op_sel:[0,1] op_sel_hi:[1,0] neg_lo:[0,1] neg_hi:[0,1]
	v_pk_add_f32 v[6:7], v[28:29], v[6:7] neg_lo:[0,1] neg_hi:[0,1]
	v_pk_fma_f32 v[60:61], v[2:3], s[4:5], v[8:9] op_sel_hi:[1,0,1]
	v_pk_fma_f32 v[2:3], v[2:3], s[4:5], v[8:9] op_sel_hi:[1,0,1] neg_lo:[1,0,0] neg_hi:[1,0,0]
	v_bitop3_b32 v13, v13, s5, v1 bitop3:0xc8
	v_mov_b32_e32 v61, v3
	v_pk_fma_f32 v[20:21], v[20:21], 2.0, v[24:25] op_sel:[0,0,1] op_sel_hi:[1,0,0] neg_lo:[0,0,1] neg_hi:[0,0,1]
	v_pk_fma_f32 v[10:11], v[28:29], 2.0, v[6:7] op_sel_hi:[1,0,1] neg_lo:[0,0,1] neg_hi:[0,0,1]
	v_pk_fma_f32 v[22:23], v[4:5], 2.0, v[60:61] op_sel_hi:[1,0,1] neg_lo:[0,0,1] neg_hi:[0,0,1]
	v_pk_add_f32 v[4:5], v[6:7], v[24:25]
	v_pk_add_f32 v[66:67], v[6:7], v[24:25] neg_lo:[0,1] neg_hi:[0,1]
	v_mul_u32_u24_e32 v13, 0xa0, v13
	v_pk_add_f32 v[8:9], v[10:11], v[20:21] neg_lo:[0,1] neg_hi:[0,1]
	v_mov_b32_e32 v5, v67
	v_add3_u32 v13, 0, v13, v55
	v_pk_fma_f32 v[10:11], v[10:11], 2.0, v[8:9] op_sel_hi:[1,0,1] neg_lo:[0,0,1] neg_hi:[0,0,1]
	v_pk_fma_f32 v[56:57], v[6:7], 2.0, v[4:5] op_sel_hi:[1,0,1] neg_lo:[0,0,1] neg_hi:[0,0,1]
	v_pk_add_f32 v[6:7], v[14:15], v[16:17] op_sel:[0,1] op_sel_hi:[1,0]
	ds_write2_b64 v13, v[10:11], v[22:23] offset1:40
	v_pk_fma_f32 v[62:63], v[36:37], s[4:5], v[6:7] op_sel_hi:[1,0,1]
	v_pk_fma_f32 v[10:11], v[36:37], s[4:5], v[6:7] op_sel_hi:[1,0,1] neg_lo:[1,0,0] neg_hi:[1,0,0]
	v_add_u32_e32 v2, 0x400, v13
	v_mov_b32_e32 v63, v11
	v_pk_fma_f32 v[6:7], v[14:15], 2.0, v[62:63] op_sel_hi:[1,0,1] neg_lo:[0,0,1] neg_hi:[0,0,1]
	ds_write2_b64 v13, v[56:57], v[6:7] offset0:80 offset1:120
	ds_write2_b64 v13, v[8:9], v[60:61] offset0:160 offset1:200
	;; [unrolled: 1-line block ×3, first 2 shown]
	s_waitcnt lgkmcnt(0)
	s_barrier
	ds_read2st64_b64 v[34:37], v18 offset1:5
	ds_read2st64_b64 v[42:45], v18 offset0:10 offset1:15
	ds_read2st64_b64 v[50:53], v18 offset0:20 offset1:25
	;; [unrolled: 1-line block ×4, first 2 shown]
	s_movk_i32 s4, 0x78
	v_cmp_gt_u32_e64 s[4:5], s4, v0
                                        ; implicit-def: $vgpr64
                                        ; implicit-def: $vgpr16
	s_and_saveexec_b64 s[14:15], s[4:5]
	s_cbranch_execz .LBB0_40
; %bb.39:
	ds_read_b64 v[56:57], v12
	v_add_u32_e32 v14, 64, v18
	ds_read2st64_b64 v[6:9], v14 offset0:8 offset1:13
	ds_read2st64_b64 v[2:5], v14 offset0:18 offset1:23
	;; [unrolled: 1-line block ×4, first 2 shown]
	ds_read_b64 v[64:65], v18 offset:24640
	s_waitcnt lgkmcnt(3)
	v_mov_b32_e32 v60, v2
	s_waitcnt lgkmcnt(2)
	v_mov_b32_e32 v62, v10
	v_mov_b32_e32 v67, v5
.LBB0_40:
	s_or_b64 exec, exec, s[14:15]
	s_load_dwordx2 s[4:5], s[0:1], 0x8
	v_and_b32_e32 v2, 15, v138
	v_mul_u32_u24_e32 v5, 9, v2
	v_lshlrev_b32_e32 v10, 3, v5
	v_mul_lo_u32 v18, v54, v2
	v_mov_b32_e32 v5, 3
	v_or_b32_e32 v20, 16, v2
	v_lshlrev_b32_sdwa v19, v5, v18 dst_sel:DWORD dst_unused:UNUSED_PAD src0_sel:DWORD src1_sel:BYTE_0
	v_lshlrev_b32_sdwa v18, v5, v18 dst_sel:DWORD dst_unused:UNUSED_PAD src0_sel:DWORD src1_sel:BYTE_1
	v_mul_lo_u32 v20, v54, v20
	v_lshlrev_b32_sdwa v21, v5, v20 dst_sel:DWORD dst_unused:UNUSED_PAD src0_sel:DWORD src1_sel:BYTE_0
	v_lshlrev_b32_sdwa v20, v5, v20 dst_sel:DWORD dst_unused:UNUSED_PAD src0_sel:DWORD src1_sel:BYTE_1
	s_waitcnt lgkmcnt(0)
	global_load_dwordx2 v[74:75], v19, s[4:5]
	global_load_dwordx2 v[76:77], v18, s[4:5] offset:2048
	global_load_dwordx2 v[70:71], v21, s[4:5]
	global_load_dwordx2 v[72:73], v20, s[4:5] offset:2048
	v_or_b32_e32 v18, 32, v2
	v_mul_lo_u32 v18, v54, v18
	v_or_b32_e32 v20, 48, v2
	v_lshlrev_b32_sdwa v19, v5, v18 dst_sel:DWORD dst_unused:UNUSED_PAD src0_sel:DWORD src1_sel:BYTE_0
	v_lshlrev_b32_sdwa v18, v5, v18 dst_sel:DWORD dst_unused:UNUSED_PAD src0_sel:DWORD src1_sel:BYTE_1
	v_mul_lo_u32 v20, v54, v20
	v_lshlrev_b32_sdwa v21, v5, v20 dst_sel:DWORD dst_unused:UNUSED_PAD src0_sel:DWORD src1_sel:BYTE_0
	v_lshlrev_b32_sdwa v20, v5, v20 dst_sel:DWORD dst_unused:UNUSED_PAD src0_sel:DWORD src1_sel:BYTE_1
	global_load_dwordx2 v[82:83], v19, s[4:5]
	global_load_dwordx2 v[84:85], v18, s[4:5] offset:2048
	global_load_dwordx2 v[78:79], v21, s[4:5]
	global_load_dwordx2 v[80:81], v20, s[4:5] offset:2048
	v_or_b32_e32 v18, 64, v2
	v_mul_lo_u32 v18, v54, v18
	v_or_b32_e32 v20, 0x50, v2
	v_lshlrev_b32_sdwa v19, v5, v18 dst_sel:DWORD dst_unused:UNUSED_PAD src0_sel:DWORD src1_sel:BYTE_0
	v_lshlrev_b32_sdwa v18, v5, v18 dst_sel:DWORD dst_unused:UNUSED_PAD src0_sel:DWORD src1_sel:BYTE_1
	v_mul_lo_u32 v20, v54, v20
	v_lshlrev_b32_sdwa v21, v5, v20 dst_sel:DWORD dst_unused:UNUSED_PAD src0_sel:DWORD src1_sel:BYTE_0
	v_lshlrev_b32_sdwa v20, v5, v20 dst_sel:DWORD dst_unused:UNUSED_PAD src0_sel:DWORD src1_sel:BYTE_1
	;; [unrolled: 12-line block ×3, first 2 shown]
	global_load_dwordx2 v[98:99], v19, s[4:5]
	global_load_dwordx2 v[100:101], v18, s[4:5] offset:2048
	global_load_dwordx2 v[94:95], v21, s[4:5]
	global_load_dwordx2 v[96:97], v20, s[4:5] offset:2048
	v_or_b32_e32 v18, 0x80, v2
	v_mul_lo_u32 v18, v54, v18
	v_or_b32_e32 v2, 0x90, v2
	v_lshlrev_b32_sdwa v55, v5, v18 dst_sel:DWORD dst_unused:UNUSED_PAD src0_sel:DWORD src1_sel:BYTE_0
	v_mul_lo_u32 v2, v54, v2
	v_lshlrev_b32_sdwa v59, v5, v18 dst_sel:DWORD dst_unused:UNUSED_PAD src0_sel:DWORD src1_sel:BYTE_1
	v_lshlrev_b32_sdwa v61, v5, v2 dst_sel:DWORD dst_unused:UNUSED_PAD src0_sel:DWORD src1_sel:BYTE_0
	v_lshlrev_b32_sdwa v2, v5, v2 dst_sel:DWORD dst_unused:UNUSED_PAD src0_sel:DWORD src1_sel:BYTE_1
	global_load_dwordx2 v[106:107], v55, s[4:5]
	global_load_dwordx2 v[108:109], v59, s[4:5] offset:2048
	global_load_dwordx2 v[102:103], v61, s[4:5]
	global_load_dwordx2 v[104:105], v2, s[4:5] offset:2048
	global_load_dwordx4 v[18:21], v10, s[12:13] offset:160
	global_load_dwordx4 v[22:25], v10, s[12:13] offset:144
	global_load_dwordx2 v[68:69], v10, s[12:13] offset:176
	global_load_dwordx4 v[26:29], v10, s[12:13] offset:128
	global_load_dwordx4 v[30:33], v10, s[12:13] offset:112
	v_add_u32_e32 v2, s11, v58
	s_and_saveexec_b64 s[0:1], s[6:7]
	s_cbranch_execz .LBB0_42
; %bb.41:
	v_or_b32_e32 v61, 0x90, v1
	v_mul_lo_u32 v10, v54, v61
	v_or_b32_e32 v63, 0x80, v1
	v_lshlrev_b32_sdwa v55, v5, v10 dst_sel:DWORD dst_unused:UNUSED_PAD src0_sel:DWORD src1_sel:BYTE_0
	v_lshlrev_b32_sdwa v10, v5, v10 dst_sel:DWORD dst_unused:UNUSED_PAD src0_sel:DWORD src1_sel:BYTE_1
	v_mul_lo_u32 v58, v54, v63
	v_or_b32_e32 v139, 0x70, v1
	v_lshlrev_b32_sdwa v66, v5, v58 dst_sel:DWORD dst_unused:UNUSED_PAD src0_sel:DWORD src1_sel:BYTE_0
	v_lshlrev_b32_sdwa v116, v5, v58 dst_sel:DWORD dst_unused:UNUSED_PAD src0_sel:DWORD src1_sel:BYTE_1
	global_load_dwordx2 v[58:59], v55, s[4:5]
	global_load_dwordx2 v[110:111], v10, s[4:5] offset:2048
	global_load_dwordx2 v[112:113], v66, s[4:5]
	global_load_dwordx2 v[114:115], v116, s[4:5] offset:2048
	v_mul_lo_u32 v10, v54, v139
	v_or_b32_e32 v176, 0x60, v1
	v_lshlrev_b32_sdwa v55, v5, v10 dst_sel:DWORD dst_unused:UNUSED_PAD src0_sel:DWORD src1_sel:BYTE_0
	v_lshlrev_b32_sdwa v10, v5, v10 dst_sel:DWORD dst_unused:UNUSED_PAD src0_sel:DWORD src1_sel:BYTE_1
	v_mul_lo_u32 v66, v54, v176
	v_or_b32_e32 v177, 0x50, v1
	v_lshlrev_b32_sdwa v124, v5, v66 dst_sel:DWORD dst_unused:UNUSED_PAD src0_sel:DWORD src1_sel:BYTE_0
	v_lshlrev_b32_sdwa v66, v5, v66 dst_sel:DWORD dst_unused:UNUSED_PAD src0_sel:DWORD src1_sel:BYTE_1
	global_load_dwordx2 v[116:117], v55, s[4:5]
	global_load_dwordx2 v[118:119], v10, s[4:5] offset:2048
	global_load_dwordx2 v[120:121], v124, s[4:5]
	global_load_dwordx2 v[122:123], v66, s[4:5] offset:2048
	;; [unrolled: 12-line block ×4, first 2 shown]
	v_mul_lo_u32 v10, v54, v181
	v_lshlrev_b32_sdwa v55, v5, v10 dst_sel:DWORD dst_unused:UNUSED_PAD src0_sel:DWORD src1_sel:BYTE_0
	v_lshlrev_b32_sdwa v10, v5, v10 dst_sel:DWORD dst_unused:UNUSED_PAD src0_sel:DWORD src1_sel:BYTE_1
	global_load_dwordx2 v[166:167], v55, s[4:5]
	global_load_dwordx2 v[168:169], v10, s[4:5] offset:2048
	v_mul_lo_u32 v10, v54, v1
	v_lshlrev_b32_sdwa v54, v5, v10 dst_sel:DWORD dst_unused:UNUSED_PAD src0_sel:DWORD src1_sel:BYTE_0
	v_lshlrev_b32_sdwa v5, v5, v10 dst_sel:DWORD dst_unused:UNUSED_PAD src0_sel:DWORD src1_sel:BYTE_1
	global_load_dwordx2 v[170:171], v54, s[4:5]
	global_load_dwordx2 v[172:173], v5, s[4:5] offset:2048
	v_mul_u32_u24_e32 v5, 9, v1
	v_lshlrev_b32_e32 v5, 3, v5
	global_load_dwordx2 v[174:175], v5, s[12:13] offset:176
	global_load_dwordx4 v[140:143], v5, s[12:13] offset:160
	global_load_dwordx4 v[144:147], v5, s[12:13] offset:144
	;; [unrolled: 1-line block ×4, first 2 shown]
	s_mov_b32 s14, 0x3e9e377a
	s_mov_b32 s6, 0x3f167918
	;; [unrolled: 1-line block ×5, first 2 shown]
	s_waitcnt vmcnt(23)
	v_mov_b32_e32 v10, v111
	v_pk_mul_f32 v[54:55], v[58:59], v[110:111] op_sel:[1,0] op_sel_hi:[0,1]
	v_pk_mul_f32 v[132:133], v[58:59], v[10:11] op_sel:[1,0] op_sel_hi:[0,1]
	v_mov_b32_e32 v10, v55
	v_pk_fma_f32 v[136:137], v[58:59], v[110:111], v[10:11] op_sel:[1,0,0] op_sel_hi:[0,1,1]
	s_waitcnt vmcnt(21)
	v_pk_mul_f32 v[126:127], v[112:113], v[114:115] op_sel:[1,0] op_sel_hi:[0,1]
	v_pk_fma_f32 v[134:135], v[58:59], v[110:111], v[132:133] neg_lo:[0,0,1] neg_hi:[0,0,1]
	v_mov_b32_e32 v66, v127
	v_mov_b32_e32 v54, v115
	s_waitcnt vmcnt(19)
	v_mul_f32_e32 v5, v117, v119
	v_mul_f32_e32 v182, v116, v119
	s_waitcnt vmcnt(17)
	v_mul_f32_e32 v119, v121, v123
	v_mul_f32_e32 v183, v120, v123
	v_pk_mul_f32 v[54:55], v[112:113], v[54:55] op_sel:[1,0] op_sel_hi:[0,1]
	v_fma_f32 v5, v116, v118, -v5
	v_fmac_f32_e32 v182, v117, v118
	v_fma_f32 v184, v120, v122, -v119
	v_fmac_f32_e32 v183, v121, v122
	s_waitcnt vmcnt(15)
	v_mov_b32_e32 v10, v129
	v_pk_mul_f32 v[110:111], v[124:125], v[10:11] op_sel:[1,0] op_sel_hi:[0,1]
	v_pk_fma_f32 v[126:127], v[124:125], v[128:129], v[110:111] neg_lo:[0,0,1] neg_hi:[0,0,1]
	v_pk_mul_f32 v[110:111], v[124:125], v[128:129] op_sel:[1,0] op_sel_hi:[0,1]
	v_mov_b32_e32 v10, v111
	v_pk_fma_f32 v[132:133], v[124:125], v[128:129], v[10:11] op_sel:[1,0,0] op_sel_hi:[0,1,1]
	v_mad_u64_u32 v[124:125], s[4:5], s10, v1, v[2:3]
	s_waitcnt vmcnt(13)
	v_mul_f32_e32 v10, v131, v157
	v_mul_f32_e32 v186, v130, v157
	v_mov_b32_e32 v125, 0
	v_mad_u64_u32 v[110:111], s[4:5], s10, v181, v[2:3]
	v_fma_f32 v185, v130, v156, -v10
	v_fmac_f32_e32 v186, v131, v156
	v_mov_b32_e32 v111, v125
	v_mad_u64_u32 v[156:157], s[4:5], s10, v61, v[2:3]
	v_pk_fma_f32 v[54:55], v[112:113], v[114:115], v[54:55] neg_lo:[0,0,1] neg_hi:[0,0,1]
	v_pk_fma_f32 v[58:59], v[112:113], v[114:115], v[66:67] op_sel:[1,0,0] op_sel_hi:[0,1,1]
	v_lshl_add_u64 v[130:131], v[110:111], 3, s[8:9]
	v_mad_u64_u32 v[110:111], s[4:5], s10, v180, v[2:3]
	v_mad_u64_u32 v[112:113], s[4:5], s10, v179, v[2:3]
	;; [unrolled: 1-line block ×7, first 2 shown]
	v_mov_b32_e32 v157, v125
	s_waitcnt vmcnt(11)
	v_mul_f32_e32 v10, v159, v161
	v_mul_f32_e32 v188, v158, v161
	v_lshl_add_u64 v[128:129], v[124:125], 3, s[8:9]
	v_mov_b32_e32 v111, v125
	v_mov_b32_e32 v113, v125
	;; [unrolled: 1-line block ×7, first 2 shown]
	v_lshl_add_u64 v[124:125], v[156:157], 3, s[8:9]
	s_waitcnt vmcnt(0)
	v_pk_mul_f32 v[156:157], v[154:155], v[42:43] op_sel:[0,1]
	v_fma_f32 v187, v158, v160, -v10
	v_fmac_f32_e32 v188, v159, v160
	v_pk_fma_f32 v[158:159], v[154:155], v[42:43], v[156:157] op_sel:[0,0,1] op_sel_hi:[1,1,0]
	v_pk_fma_f32 v[42:43], v[154:155], v[42:43], v[156:157] op_sel:[0,0,1] op_sel_hi:[1,0,0] neg_lo:[1,0,0] neg_hi:[1,0,0]
	s_mov_b32 s4, 0x3f737871
	v_mov_b32_e32 v159, v43
	v_pk_mul_f32 v[42:43], v[142:143], v[38:39] op_sel:[0,1]
	v_mul_f32_e32 v10, v163, v165
	v_pk_fma_f32 v[154:155], v[142:143], v[38:39], v[42:43] op_sel:[0,0,1] op_sel_hi:[1,1,0]
	v_pk_fma_f32 v[38:39], v[142:143], v[38:39], v[42:43] op_sel:[0,0,1] op_sel_hi:[1,0,0] neg_lo:[1,0,0] neg_hi:[1,0,0]
	v_fma_f32 v189, v162, v164, -v10
	v_mov_b32_e32 v155, v39
	v_pk_mul_f32 v[38:39], v[150:151], v[50:51] op_sel:[0,1]
	v_mul_f32_e32 v10, v167, v169
	v_pk_fma_f32 v[42:43], v[150:151], v[50:51], v[38:39] op_sel:[0,0,1] op_sel_hi:[1,1,0]
	v_pk_fma_f32 v[38:39], v[150:151], v[50:51], v[38:39] op_sel:[0,0,1] op_sel_hi:[1,0,0] neg_lo:[1,0,0] neg_hi:[1,0,0]
	v_pk_add_f32 v[150:151], v[158:159], v[154:155] neg_lo:[0,1] neg_hi:[0,1]
	v_mov_b32_e32 v43, v39
	v_pk_mul_f32 v[38:39], v[146:147], v[46:47] op_sel:[0,1]
	v_mul_f32_e32 v169, v166, v169
	v_pk_fma_f32 v[50:51], v[146:147], v[46:47], v[38:39] op_sel:[0,0,1] op_sel_hi:[1,1,0]
	v_pk_fma_f32 v[38:39], v[146:147], v[46:47], v[38:39] op_sel:[0,0,1] op_sel_hi:[1,0,0] neg_lo:[1,0,0] neg_hi:[1,0,0]
	v_mul_f32_e32 v1, v171, v173
	v_mov_b32_e32 v51, v39
	v_pk_add_f32 v[146:147], v[42:43], v[50:51]
	v_pk_add_f32 v[38:39], v[158:159], v[42:43] neg_lo:[0,1] neg_hi:[0,1]
	v_pk_add_f32 v[46:47], v[154:155], v[50:51] neg_lo:[0,1] neg_hi:[0,1]
	v_pk_fma_f32 v[146:147], v[146:147], 0.5, v[34:35] op_sel_hi:[1,0,1] neg_lo:[1,0,0] neg_hi:[1,0,0]
	v_pk_add_f32 v[38:39], v[38:39], v[46:47]
	v_pk_add_f32 v[142:143], v[42:43], v[50:51] neg_lo:[0,1] neg_hi:[0,1]
	v_pk_fma_f32 v[156:157], v[150:151], s[4:5], v[146:147] op_sel:[1,0,0] op_sel_hi:[0,0,1]
	v_pk_mul_f32 v[46:47], v[38:39], s[14:15] op_sel_hi:[1,0]
	v_pk_fma_f32 v[146:147], v[150:151], s[4:5], v[146:147] op_sel:[1,0,0] op_sel_hi:[0,0,1] neg_lo:[1,0,0] neg_hi:[1,0,0]
	v_pk_fma_f32 v[160:161], v[142:143], s[6:7], v[156:157] op_sel:[1,0,0] op_sel_hi:[0,0,1]
	v_fmac_f32_e32 v157, 0x3f167918, v142
	v_pk_fma_f32 v[146:147], v[142:143], s[6:7], v[146:147] op_sel:[1,0,0] op_sel_hi:[0,0,1] neg_lo:[1,0,0] neg_hi:[1,0,0]
	v_add_f32_e32 v61, v47, v157
	v_pk_add_f32 v[156:157], v[158:159], v[154:155]
	v_mov_b32_e32 v161, v147
	v_add_f32_e32 v63, v46, v146
	v_pk_add_f32 v[46:47], v[42:43], v[158:159] neg_lo:[0,1] neg_hi:[0,1]
	v_pk_add_f32 v[146:147], v[50:51], v[154:155] neg_lo:[0,1] neg_hi:[0,1]
	v_pk_fma_f32 v[156:157], v[156:157], 0.5, v[34:35] op_sel_hi:[1,0,1] neg_lo:[1,0,0] neg_hi:[1,0,0]
	v_pk_fma_f32 v[38:39], v[38:39], s[14:15], v[160:161] op_sel_hi:[1,0,1]
	v_pk_add_f32 v[46:47], v[46:47], v[146:147]
	v_pk_fma_f32 v[160:161], v[142:143], s[4:5], v[156:157] op_sel:[1,0,0] op_sel_hi:[0,0,1] neg_lo:[1,0,0] neg_hi:[1,0,0]
	v_pk_fma_f32 v[142:143], v[142:143], s[4:5], v[156:157] op_sel:[1,0,0] op_sel_hi:[0,0,1]
	v_pk_mul_f32 v[146:147], v[46:47], s[14:15] op_sel_hi:[1,0]
	v_pk_fma_f32 v[156:157], v[150:151], s[6:7], v[160:161] op_sel:[1,0,0] op_sel_hi:[0,0,1]
	v_pk_fma_f32 v[142:143], v[150:151], s[6:7], v[142:143] op_sel:[1,0,0] op_sel_hi:[0,0,1] neg_lo:[1,0,0] neg_hi:[1,0,0]
	v_fma_f32 v191, v166, v168, -v10
	v_fmac_f32_e32 v169, v167, v168
	v_fma_f32 v1, v170, v172, -v1
	v_mul_f32_e32 v168, v170, v173
	v_mov_b32_e32 v157, v143
	v_fmac_f32_e32 v161, 0x3f167918, v150
	v_add_f32_e32 v170, v146, v142
	v_pk_mul_f32 v[142:143], v[144:145], v[52:53] op_sel:[0,1]
	v_add_f32_e32 v139, v147, v161
	v_pk_fma_f32 v[146:147], v[144:145], v[52:53], v[142:143] op_sel:[0,0,1] op_sel_hi:[1,1,0]
	v_pk_fma_f32 v[52:53], v[144:145], v[52:53], v[142:143] op_sel:[0,0,1] op_sel_hi:[1,0,0] neg_lo:[1,0,0] neg_hi:[1,0,0]
	v_pk_mul_f32 v[142:143], v[148:149], v[44:45] op_sel:[0,1]
	v_mul_f32_e32 v190, v162, v165
	v_pk_fma_f32 v[144:145], v[148:149], v[44:45], v[142:143] op_sel:[0,0,1] op_sel_hi:[1,1,0]
	v_pk_fma_f32 v[44:45], v[148:149], v[44:45], v[142:143] op_sel:[0,0,1] op_sel_hi:[1,0,0] neg_lo:[1,0,0] neg_hi:[1,0,0]
	v_pk_mul_f32 v[142:143], v[140:141], v[48:49] op_sel:[0,1]
	v_fmac_f32_e32 v190, v163, v164
	v_pk_fma_f32 v[148:149], v[140:141], v[48:49], v[142:143] op_sel:[0,0,1] op_sel_hi:[1,1,0]
	v_pk_fma_f32 v[48:49], v[140:141], v[48:49], v[142:143] op_sel:[0,0,1] op_sel_hi:[1,0,0] neg_lo:[1,0,0] neg_hi:[1,0,0]
	v_pk_mul_f32 v[140:141], v[40:41], v[174:175] op_sel:[0,1]
	v_mov_b32_e32 v48, v53
	v_pk_fma_f32 v[142:143], v[40:41], v[174:175], v[140:141] op_sel:[0,0,1] op_sel_hi:[1,1,0]
	v_pk_fma_f32 v[40:41], v[40:41], v[174:175], v[140:141] op_sel:[0,0,1] op_sel_hi:[1,0,0] neg_lo:[0,0,1] neg_hi:[0,0,1]
	v_mov_b32_e32 v145, v45
	v_mov_b32_e32 v40, v45
	;; [unrolled: 1-line block ×7, first 2 shown]
	v_pk_mul_f32 v[164:165], v[152:153], v[36:37] op_sel:[0,1]
	v_pk_add_f32 v[44:45], v[40:41], v[48:49] neg_lo:[0,1] neg_hi:[0,1]
	v_pk_add_f32 v[40:41], v[48:49], v[40:41] neg_lo:[0,1] neg_hi:[0,1]
	v_mov_b32_e32 v147, v53
	v_mov_b32_e32 v149, v49
	v_pk_fma_f32 v[166:167], v[152:153], v[36:37], v[164:165] op_sel:[0,0,1] op_sel_hi:[1,0,0]
	v_pk_fma_f32 v[36:37], v[152:153], v[36:37], v[164:165] op_sel:[0,0,1] op_sel_hi:[1,0,0] neg_lo:[1,0,0] neg_hi:[1,0,0]
	v_pk_add_f32 v[52:53], v[150:151], v[140:141] neg_lo:[0,1] neg_hi:[0,1]
	v_mov_b32_e32 v48, v41
	v_pk_fma_f32 v[46:47], v[46:47], s[14:15], v[156:157] op_sel_hi:[1,0,1]
	v_pk_add_f32 v[156:157], v[140:141], v[150:151] neg_lo:[0,1] neg_hi:[0,1]
	v_pk_add_f32 v[162:163], v[146:147], v[148:149]
	v_pk_add_f32 v[152:153], v[144:145], v[142:143] neg_lo:[0,1] neg_hi:[0,1]
	v_mov_b32_e32 v36, v45
	v_mov_b32_e32 v66, v53
	v_pk_add_f32 v[140:141], v[144:145], v[142:143]
	v_pk_add_f32 v[40:41], v[40:41], v[48:49]
	v_mov_b32_e32 v10, v157
	v_pk_add_f32 v[160:161], v[146:147], v[148:149] neg_lo:[0,1] neg_hi:[0,1]
	s_mov_b32 s15, s6
	v_mov_b32_e32 v167, v37
	v_pk_add_f32 v[44:45], v[44:45], v[36:37]
	v_fma_f32 v163, -0.5, v163, v37
	v_pk_add_f32 v[52:53], v[52:53], v[66:67]
	v_mov_b32_e32 v150, v166
	v_fmac_f32_e32 v37, -0.5, v141
	v_mov_b32_e32 v41, v152
	v_pk_add_f32 v[156:157], v[156:157], v[10:11]
	v_mov_b32_e32 v45, v160
	v_mov_b32_e32 v53, v153
	v_fmac_f32_e32 v150, -0.5, v140
	v_fmamk_f32 v48, v160, 0x3f737871, v37
	v_pk_mul_f32 v[40:41], v[40:41], s[14:15]
	v_fmac_f32_e32 v37, 0xbf737871, v160
	v_mov_b32_e32 v157, v161
	v_fma_f32 v162, -0.5, v162, v166
	v_fmamk_f32 v36, v152, 0xbf737871, v163
	v_pk_mul_f32 v[44:45], v[44:45], s[14:15]
	v_pk_mul_f32 v[52:53], v[52:53], s[14:15]
	v_fmamk_f32 v66, v161, 0xbf737871, v150
	v_sub_f32_e32 v48, v48, v41
	v_fmac_f32_e32 v150, 0x3f737871, v161
	v_add_f32_e32 v37, v41, v37
	v_fmac_f32_e32 v163, 0x3f737871, v152
	v_pk_mul_f32 v[156:157], v[156:157], s[14:15]
	v_fmamk_f32 v10, v153, 0x3f737871, v162
	v_add_f32_e32 v48, v40, v48
	v_sub_f32_e32 v49, v150, v53
	v_add_f32_e32 v37, v40, v37
	v_fmac_f32_e32 v162, 0xbf737871, v153
	v_add_f32_e32 v40, v45, v163
	v_sub_f32_e32 v36, v36, v45
	v_add_f32_e32 v49, v52, v49
	v_mul_f32_e32 v140, 0x3e9e377a, v37
	v_mul_f32_e32 v141, 0xbf737871, v37
	v_sub_f32_e32 v37, v162, v157
	v_add_f32_e32 v40, v44, v40
	v_add_f32_e32 v10, v157, v10
	;; [unrolled: 1-line block ×3, first 2 shown]
	v_fmac_f32_e32 v140, 0x3f737871, v49
	v_fmac_f32_e32 v141, 0x3e9e377a, v49
	v_add_f32_e32 v37, v156, v37
	v_mul_f32_e32 v49, 0x3f4f1bbd, v40
	s_mov_b32 s14, 0xbf167918
	v_mul_f32_e32 v150, 0xbf167918, v40
	s_mov_b32 s15, s16
	v_add_f32_e32 v10, v156, v10
	v_fmac_f32_e32 v49, 0x3f167918, v37
	v_fmac_f32_e32 v150, 0x3f4f1bbd, v37
	v_pk_add_f32 v[40:41], v[166:167], v[144:145]
	v_pk_mul_f32 v[36:37], v[36:37], s[14:15] op_sel_hi:[0,1]
	v_pk_add_f32 v[34:35], v[34:35], v[158:159]
	v_pk_add_f32 v[40:41], v[40:41], v[146:147]
	v_pk_fma_f32 v[36:37], v[10:11], s[16:17], v[36:37] op_sel_hi:[0,1,1]
	v_pk_add_f32 v[34:35], v[34:35], v[42:43]
	v_add_f32_e32 v66, v53, v66
	v_pk_add_f32 v[40:41], v[40:41], v[148:149]
	v_pk_add_f32 v[44:45], v[38:39], v[36:37] neg_lo:[0,1] neg_hi:[0,1]
	v_pk_add_f32 v[34:35], v[34:35], v[50:51]
	v_add_f32_e32 v66, v52, v66
	v_pk_add_f32 v[40:41], v[40:41], v[142:143]
	v_pk_mul_f32 v[52:53], v[44:45], v[136:137] op_sel_hi:[1,0]
	v_pk_add_f32 v[34:35], v[34:35], v[154:155]
	v_pk_fma_f32 v[136:137], v[44:45], v[134:135], v[52:53] op_sel:[0,0,1] op_sel_hi:[1,1,0]
	v_pk_fma_f32 v[44:45], v[44:45], v[134:135], v[52:53] op_sel:[0,0,1] op_sel_hi:[1,0,0] neg_lo:[0,0,1] neg_hi:[0,0,1]
	v_pk_add_f32 v[42:43], v[34:35], v[40:41] neg_lo:[0,1] neg_hi:[0,1]
	v_sub_f32_e32 v44, v63, v150
	v_pk_mul_f32 v[50:51], v[42:43], v[132:133] op_sel_hi:[1,0]
	v_sub_f32_e32 v10, v61, v49
	v_mul_f32_e32 v52, v44, v183
	v_pk_fma_f32 v[132:133], v[42:43], v[126:127], v[50:51] op_sel:[0,0,1] op_sel_hi:[1,1,0]
	v_pk_fma_f32 v[42:43], v[42:43], v[126:127], v[50:51] op_sel:[0,0,1] op_sel_hi:[1,0,0] neg_lo:[0,0,1] neg_hi:[0,0,1]
	v_pk_add_f32 v[36:37], v[38:39], v[36:37]
	v_fma_f32 v53, v10, v184, -v52
	v_mul_f32_e32 v52, v10, v183
	v_mul_f32_e32 v10, v36, v186
	;; [unrolled: 1-line block ×3, first 2 shown]
	v_add_f32_e32 v42, v63, v150
	v_fmac_f32_e32 v168, v172, v171
	v_fma_f32 v39, v37, v185, -v10
	v_fmac_f32_e32 v38, v36, v185
	v_add_f32_e32 v10, v61, v49
	v_mul_f32_e32 v36, v42, v169
	v_pk_add_f32 v[34:35], v[34:35], v[40:41]
	s_mov_b32 s6, 0xbe9e377a
	v_fma_f32 v37, v10, v191, -v36
	v_mul_f32_e32 v36, v10, v169
	v_mul_f32_e32 v10, v34, v168
	;; [unrolled: 1-line block ×3, first 2 shown]
	s_mov_b32 s13, s6
	v_fma_f32 v41, v35, v1, -v10
	v_fmac_f32_e32 v40, v34, v1
	s_mov_b32 s7, s4
	v_pk_mul_f32 v[34:35], v[48:49], s[12:13] op_sel_hi:[0,1]
	v_fmac_f32_e32 v36, v42, v191
	v_pk_fma_f32 v[34:35], v[66:67], s[6:7], v[34:35] op_sel_hi:[0,1,1]
	global_store_dwordx2 v[128:129], v[40:41], off
	global_store_dwordx2 v[130:131], v[36:37], off
	v_pk_add_f32 v[36:37], v[46:47], v[34:35] neg_lo:[0,1] neg_hi:[0,1]
	v_sub_f32_e32 v10, v170, v141
	v_pk_mul_f32 v[40:41], v[36:37], v[58:59] op_sel_hi:[1,0]
	v_sub_f32_e32 v1, v139, v140
	v_pk_fma_f32 v[48:49], v[36:37], v[54:55], v[40:41] op_sel:[0,0,1] op_sel_hi:[1,1,0]
	v_pk_fma_f32 v[36:37], v[36:37], v[54:55], v[40:41] op_sel:[0,0,1] op_sel_hi:[1,0,0] neg_lo:[0,0,1] neg_hi:[0,0,1]
	v_pk_add_f32 v[34:35], v[46:47], v[34:35]
	v_mul_f32_e32 v36, v10, v182
	v_fma_f32 v41, v1, v5, -v36
	v_mul_f32_e32 v40, v1, v182
	v_mul_f32_e32 v1, v34, v188
	v_fmac_f32_e32 v40, v10, v5
	v_fma_f32 v47, v35, v187, -v1
	v_mul_f32_e32 v46, v35, v188
	v_add_f32_e32 v1, v139, v140
	v_add_f32_e32 v5, v170, v141
	v_fmac_f32_e32 v46, v34, v187
	v_mul_f32_e32 v10, v5, v190
	v_mul_f32_e32 v34, v1, v190
	v_lshl_add_u64 v[110:111], v[110:111], 3, s[8:9]
	v_lshl_add_u64 v[116:117], v[116:117], 3, s[8:9]
	;; [unrolled: 1-line block ×3, first 2 shown]
	v_fma_f32 v35, v1, v189, -v10
	v_fmac_f32_e32 v34, v5, v189
	v_mov_b32_e32 v133, v43
	v_mov_b32_e32 v49, v37
	;; [unrolled: 1-line block ×3, first 2 shown]
	v_lshl_add_u64 v[112:113], v[112:113], 3, s[8:9]
	v_lshl_add_u64 v[114:115], v[114:115], 3, s[8:9]
	;; [unrolled: 1-line block ×4, first 2 shown]
	v_fmac_f32_e32 v52, v44, v184
	global_store_dwordx2 v[110:111], v[34:35], off
	global_store_dwordx2 v[112:113], v[46:47], off
	;; [unrolled: 1-line block ×8, first 2 shown]
.LBB0_42:
	s_or_b64 exec, exec, s[0:1]
	s_movk_i32 s4, 0x78
	s_movk_i32 s0, 0x77
	v_cmp_lt_u32_e64 s[0:1], s0, v0
	v_cmp_gt_u32_e64 s[4:5], s4, v0
	v_cndmask_b32_e64 v1, 0, 1, s[2:3]
	s_or_b64 vcc, s[0:1], vcc
	v_cndmask_b32_e64 v0, 0, 1, s[4:5]
	v_cndmask_b32_e32 v0, v1, v0, vcc
	v_and_b32_e32 v0, 1, v0
	v_cmp_eq_u32_e32 vcc, 1, v0
	s_and_saveexec_b64 s[0:1], vcc
	s_cbranch_execz .LBB0_44
; %bb.43:
	s_waitcnt vmcnt(7)
	v_pk_mul_f32 v[34:35], v[106:107], v[108:109] op_sel:[1,0] op_sel_hi:[0,1]
	v_mov_b32_e32 v10, v35
	v_pk_fma_f32 v[36:37], v[106:107], v[108:109], v[10:11] op_sel:[1,0,0] op_sel_hi:[0,1,1]
	s_waitcnt vmcnt(5)
	v_mov_b32_e32 v10, v105
	v_pk_mul_f32 v[38:39], v[102:103], v[104:105] op_sel:[1,0] op_sel_hi:[0,1]
	v_pk_mul_f32 v[34:35], v[102:103], v[10:11] op_sel:[1,0] op_sel_hi:[0,1]
	v_mov_b32_e32 v10, v39
	v_pk_fma_f32 v[38:39], v[102:103], v[104:105], v[10:11] op_sel:[1,0,0] op_sel_hi:[0,1,1]
	v_mov_b32_e32 v10, v9
	s_waitcnt vmcnt(0)
	v_pk_mul_f32 v[44:45], v[10:11], v[32:33] op_sel_hi:[0,1]
	v_pk_fma_f32 v[46:47], v[8:9], v[32:33], v[44:45] op_sel:[0,0,1] op_sel_hi:[1,1,0]
	v_pk_fma_f32 v[8:9], v[8:9], v[32:33], v[44:45] op_sel:[0,0,1] op_sel_hi:[0,1,0] neg_lo:[1,0,0] neg_hi:[1,0,0]
	v_mov_b32_e32 v8, v67
	v_mov_b32_e32 v47, v9
	v_pk_mul_f32 v[8:9], v[8:9], v[28:29] op_sel_hi:[0,1]
	v_pk_fma_f32 v[32:33], v[4:5], v[28:29], v[8:9] op_sel:[0,0,1] op_sel_hi:[1,1,0]
	v_pk_fma_f32 v[4:5], v[4:5], v[28:29], v[8:9] op_sel:[0,0,1] op_sel_hi:[0,1,0] neg_lo:[1,0,0] neg_hi:[1,0,0]
	v_mov_b32_e32 v4, v13
	v_mov_b32_e32 v33, v5
	;; [unrolled: 5-line block ×3, first 2 shown]
	v_pk_mul_f32 v[4:5], v[4:5], v[20:21] op_sel_hi:[0,1]
	v_pk_fma_f32 v[12:13], v[16:17], v[20:21], v[4:5] op_sel:[0,0,1] op_sel_hi:[1,1,0]
	v_pk_fma_f32 v[4:5], v[16:17], v[20:21], v[4:5] op_sel:[0,0,1] op_sel_hi:[0,1,0] neg_lo:[1,0,0] neg_hi:[1,0,0]
	v_mov_b32_e32 v13, v5
	v_pk_add_f32 v[4:5], v[32:33], v[8:9]
	v_mul_f32_e32 v0, v75, v77
	v_pk_fma_f32 v[4:5], v[4:5], 0.5, v[56:57] op_sel_hi:[1,0,1] neg_lo:[1,0,0] neg_hi:[1,0,0]
	v_pk_add_f32 v[16:17], v[46:47], v[12:13] neg_lo:[0,1] neg_hi:[0,1]
	s_mov_b32 s0, 0x3f737871
	v_pk_add_f32 v[24:25], v[32:33], v[8:9] neg_lo:[0,1] neg_hi:[0,1]
	s_mov_b32 s2, 0x3f167918
	v_pk_add_f32 v[44:45], v[46:47], v[32:33] neg_lo:[0,1] neg_hi:[0,1]
	v_pk_add_f32 v[48:49], v[12:13], v[8:9] neg_lo:[0,1] neg_hi:[0,1]
	v_fma_f32 v63, v74, v76, -v0
	v_mul_f32_e32 v0, v71, v73
	v_pk_fma_f32 v[20:21], v[16:17], s[0:1], v[4:5] op_sel:[1,0,0] op_sel_hi:[0,0,1] neg_lo:[1,0,0] neg_hi:[1,0,0]
	v_pk_mul_f32 v[28:29], v[24:25], s[2:3] op_sel:[1,0] op_sel_hi:[0,0]
	v_pk_add_f32 v[44:45], v[44:45], v[48:49]
	s_mov_b32 s4, 0x3e9e377a
	v_pk_fma_f32 v[4:5], v[16:17], s[0:1], v[4:5] op_sel:[1,0,0] op_sel_hi:[0,0,1]
	v_mul_f32_e32 v66, v74, v77
	v_fma_f32 v74, v70, v72, -v0
	v_mul_f32_e32 v70, v70, v73
	v_mul_f32_e32 v0, v83, v85
	v_pk_mul_f32 v[48:49], v[44:45], s[4:5] op_sel_hi:[1,0]
	v_add_f32_e32 v10, v29, v5
	v_fmac_f32_e32 v70, v71, v72
	v_fma_f32 v71, v82, v84, -v0
	v_mul_f32_e32 v72, v82, v85
	v_pk_fma_f32 v[20:21], v[24:25], s[2:3], v[20:21] op_sel:[1,0,0] op_sel_hi:[0,0,1] neg_lo:[1,0,0] neg_hi:[1,0,0]
	v_add_f32_e32 v82, v49, v10
	v_pk_fma_f32 v[4:5], v[24:25], s[2:3], v[4:5] op_sel:[1,0,0] op_sel_hi:[0,0,1]
	v_mov_b32_e32 v10, v7
	v_add_f32_e32 v67, v48, v20
	v_mov_b32_e32 v5, v21
	v_pk_mul_f32 v[20:21], v[10:11], v[30:31] op_sel_hi:[0,1]
	v_pk_fma_f32 v[28:29], v[6:7], v[30:31], v[20:21] op_sel:[0,0,1] op_sel_hi:[0,1,0]
	v_pk_fma_f32 v[6:7], v[6:7], v[30:31], v[20:21] op_sel:[0,0,1] op_sel_hi:[0,1,0] neg_lo:[1,0,0] neg_hi:[1,0,0]
	v_mov_b32_e32 v6, v3
	v_pk_mul_f32 v[20:21], v[6:7], v[26:27] op_sel_hi:[0,1]
	v_mov_b32_e32 v6, v11
	v_pk_mul_f32 v[10:11], v[6:7], v[22:23] op_sel_hi:[0,1]
	v_mov_b32_e32 v6, v15
	v_pk_fma_f32 v[30:31], v[60:61], v[26:27], v[20:21] op_sel:[0,0,1] op_sel_hi:[1,1,0]
	v_pk_fma_f32 v[20:21], v[60:61], v[26:27], v[20:21] op_sel:[0,0,1] op_sel_hi:[0,1,0] neg_lo:[1,0,0] neg_hi:[1,0,0]
	v_pk_fma_f32 v[26:27], v[62:63], v[22:23], v[10:11] op_sel:[0,0,1] op_sel_hi:[1,1,0]
	v_pk_fma_f32 v[10:11], v[62:63], v[22:23], v[10:11] op_sel:[0,0,1] op_sel_hi:[0,1,0] neg_lo:[1,0,0] neg_hi:[1,0,0]
	v_pk_mul_f32 v[22:23], v[6:7], v[18:19] op_sel_hi:[0,1]
	v_mov_b32_e32 v6, v65
	v_pk_fma_f32 v[4:5], v[44:45], s[4:5], v[4:5] op_sel_hi:[1,0,1]
	v_pk_fma_f32 v[44:45], v[14:15], v[18:19], v[22:23] op_sel:[0,0,1] op_sel_hi:[1,1,0]
	v_pk_fma_f32 v[14:15], v[14:15], v[18:19], v[22:23] op_sel:[0,0,1] op_sel_hi:[0,1,0] neg_lo:[1,0,0] neg_hi:[1,0,0]
	v_pk_mul_f32 v[18:19], v[6:7], v[68:69] op_sel_hi:[0,1]
	v_pk_fma_f32 v[22:23], v[64:65], v[68:69], v[18:19] op_sel:[0,0,1] op_sel_hi:[1,1,0]
	v_mov_b32_e32 v54, v30
	v_mov_b32_e32 v55, v22
	;; [unrolled: 1-line block ×4, first 2 shown]
	v_pk_add_f32 v[60:61], v[54:55], v[58:59] neg_lo:[0,1] neg_hi:[0,1]
	v_mov_b32_e32 v27, v11
	v_mov_b32_e32 v45, v15
	v_pk_fma_f32 v[18:19], v[64:65], v[68:69], v[18:19] op_sel:[0,0,1] op_sel_hi:[0,1,0] neg_lo:[1,0,0] neg_hi:[1,0,0]
	v_mov_b32_e32 v6, v61
	v_mov_b32_e32 v31, v21
	;; [unrolled: 1-line block ×3, first 2 shown]
	v_pk_add_f32 v[48:49], v[26:27], v[44:45]
	v_pk_add_f32 v[52:53], v[26:27], v[44:45] neg_lo:[0,1] neg_hi:[0,1]
	v_pk_add_f32 v[60:61], v[60:61], v[6:7]
	v_fma_f32 v3, -0.5, v48, v28
	v_pk_add_f32 v[50:51], v[30:31], v[22:23] neg_lo:[0,1] neg_hi:[0,1]
	v_mov_b32_e32 v61, v53
	s_mov_b32 s5, s2
	v_fmamk_f32 v10, v51, 0xbf737871, v3
	v_pk_mul_f32 v[60:61], v[60:61], s[4:5]
	v_fmac_f32_e32 v3, 0x3f737871, v51
	v_pk_add_f32 v[54:55], v[58:59], v[54:55] neg_lo:[0,1] neg_hi:[0,1]
	v_sub_f32_e32 v6, v10, v61
	v_add_f32_e32 v3, v61, v3
	v_mov_b32_e32 v10, v55
	v_add_f32_e32 v48, v60, v6
	v_add_f32_e32 v6, v60, v3
	v_pk_add_f32 v[60:61], v[30:31], v[22:23]
	v_mov_b32_e32 v3, v28
	v_pk_add_f32 v[54:55], v[54:55], v[10:11]
	v_mov_b32_e32 v29, v7
	v_fmac_f32_e32 v3, -0.5, v60
	v_mov_b32_e32 v55, v51
	v_fmamk_f32 v14, v53, 0x3f737871, v3
	v_pk_mul_f32 v[54:55], v[54:55], s[4:5]
	v_fmac_f32_e32 v3, 0xbf737871, v53
	v_pk_add_f32 v[28:29], v[28:29], v[30:31]
	v_sub_f32_e32 v10, v14, v55
	v_add_f32_e32 v3, v55, v3
	v_pk_add_f32 v[26:27], v[28:29], v[26:27]
	v_mov_b32_e32 v18, v21
	v_mov_b32_e32 v14, v11
	v_add_f32_e32 v51, v54, v10
	v_add_f32_e32 v10, v54, v3
	v_pk_add_f32 v[26:27], v[26:27], v[44:45]
	v_fma_f32 v3, -0.5, v49, v7
	v_pk_add_f32 v[20:21], v[18:19], v[14:15] neg_lo:[0,1] neg_hi:[0,1]
	v_pk_add_f32 v[22:23], v[26:27], v[22:23]
	v_fmamk_f32 v27, v50, 0x3f737871, v3
	v_mov_b32_e32 v26, v21
	v_pk_add_f32 v[20:21], v[20:21], v[26:27]
	v_pk_add_f32 v[14:15], v[14:15], v[18:19] neg_lo:[0,1] neg_hi:[0,1]
	v_mov_b32_e32 v21, v52
	v_mov_b32_e32 v18, v15
	v_pk_mul_f32 v[20:21], v[20:21], s[4:5]
	v_fmac_f32_e32 v3, 0xbf737871, v50
	v_pk_add_f32 v[14:15], v[14:15], v[18:19]
	v_pk_add_f32 v[18:19], v[56:57], v[46:47]
	v_mul_f32_e32 v0, v79, v81
	v_add_f32_e32 v11, v21, v27
	v_sub_f32_e32 v3, v3, v21
	v_fmac_f32_e32 v7, -0.5, v61
	v_mov_b32_e32 v15, v50
	v_pk_add_f32 v[18:19], v[18:19], v[32:33]
	s_mov_b32 s14, 0xbf4f1bbd
	v_fma_f32 v73, v78, v80, -v0
	v_mul_f32_e32 v0, v91, v93
	v_add_f32_e32 v11, v20, v11
	v_add_f32_e32 v20, v20, v3
	v_fmamk_f32 v3, v52, 0xbf737871, v7
	v_pk_mul_f32 v[14:15], v[14:15], s[4:5]
	v_fmac_f32_e32 v7, 0x3f737871, v52
	s_mov_b32 s12, 0xbf167918
	v_pk_add_f32 v[18:19], v[18:19], v[8:9]
	s_mov_b32 s13, s14
	v_fmac_f32_e32 v66, v75, v76
	v_fma_f32 v76, v90, v92, -v0
	v_mov_b32_e32 v0, v89
	v_add_f32_e32 v3, v15, v3
	v_sub_f32_e32 v7, v7, v15
	v_pk_add_f32 v[18:19], v[18:19], v[12:13]
	s_mov_b32 s15, s2
	v_pk_mul_f32 v[20:21], v[20:21], s[12:13] op_sel_hi:[0,1]
	v_mul_f32_e32 v77, v90, v93
	v_pk_mul_f32 v[0:1], v[86:87], v[0:1] op_sel:[1,0] op_sel_hi:[0,1]
	v_add_f32_e32 v3, v14, v3
	v_add_f32_e32 v14, v14, v7
	v_pk_add_f32 v[26:27], v[18:19], v[22:23]
	v_pk_fma_f32 v[6:7], v[6:7], s[14:15], v[20:21] op_sel_hi:[0,1,1]
	v_fmac_f32_e32 v77, v91, v92
	v_pk_fma_f32 v[40:41], v[86:87], v[88:89], v[0:1] neg_lo:[0,0,1] neg_hi:[0,0,1]
	v_pk_mul_f32 v[0:1], v[86:87], v[88:89] op_sel:[1,0] op_sel_hi:[0,1]
	v_mul_f32_e32 v15, 0xbf167918, v11
	v_mul_f32_e32 v11, 0x3f4f1bbd, v11
	v_pk_add_f32 v[20:21], v[4:5], v[6:7]
	v_pk_add_f32 v[4:5], v[4:5], v[6:7] neg_lo:[0,1] neg_hi:[0,1]
	v_mul_f32_e32 v6, v27, v66
	v_mul_f32_e32 v75, v78, v81
	v_mov_b32_e32 v0, v1
	v_fmac_f32_e32 v15, 0x3f4f1bbd, v48
	v_fmac_f32_e32 v11, 0x3f167918, v48
	;; [unrolled: 1-line block ×3, first 2 shown]
	v_mul_f32_e32 v7, v26, v66
	v_mul_f32_e32 v26, v21, v77
	v_fmac_f32_e32 v75, v79, v80
	v_pk_fma_f32 v[42:43], v[86:87], v[88:89], v[0:1] op_sel:[1,0,0] op_sel_hi:[0,1,1]
	v_mul_f32_e32 v79, v98, v101
	v_add_f32_e32 v28, v67, v15
	v_add_f32_e32 v29, v82, v11
	v_pk_add_f32 v[18:19], v[18:19], v[22:23] neg_lo:[0,1] neg_hi:[0,1]
	v_fmac_f32_e32 v26, v20, v76
	v_mul_f32_e32 v20, v20, v77
	v_mul_f32_e32 v0, v99, v101
	v_fmac_f32_e32 v79, v99, v100
	v_sub_f32_e32 v11, v82, v11
	v_fma_f32 v7, v27, v63, -v7
	v_mul_f32_e32 v22, v29, v70
	v_mul_f32_e32 v23, v28, v70
	v_fma_f32 v27, v21, v76, -v20
	v_pk_mul_f32 v[20:21], v[18:19], v[42:43] op_sel_hi:[1,0]
	v_fma_f32 v78, v98, v100, -v0
	v_sub_f32_e32 v15, v67, v15
	v_fmac_f32_e32 v22, v28, v74
	v_fma_f32 v23, v29, v74, -v23
	v_pk_fma_f32 v[28:29], v[18:19], v[40:41], v[20:21] op_sel:[0,0,1] op_sel_hi:[1,1,0]
	v_pk_fma_f32 v[18:19], v[18:19], v[40:41], v[20:21] op_sel:[0,0,1] op_sel_hi:[1,0,0] neg_lo:[0,0,1] neg_hi:[0,0,1]
	v_mul_f32_e32 v20, v11, v79
	s_mov_b32 s12, 0xbe9e377a
	s_mov_b32 s6, 0xbf737871
	v_fmac_f32_e32 v20, v15, v78
	v_mul_f32_e32 v15, v15, v79
	s_mov_b32 s7, s12
	v_fma_f32 v21, v11, v78, -v15
	s_mov_b32 s13, s0
	v_pk_mul_f32 v[14:15], v[14:15], s[6:7] op_sel_hi:[0,1]
	v_pk_fma_f32 v[10:11], v[10:11], s[12:13], v[14:15] op_sel_hi:[0,1,1]
	v_pk_add_f32 v[14:15], v[46:47], v[12:13]
	v_pk_add_f32 v[32:33], v[32:33], v[46:47] neg_lo:[0,1] neg_hi:[0,1]
	v_pk_fma_f32 v[14:15], v[14:15], 0.5, v[56:57] op_sel_hi:[1,0,1] neg_lo:[1,0,0] neg_hi:[1,0,0]
	v_pk_add_f32 v[8:9], v[8:9], v[12:13] neg_lo:[0,1] neg_hi:[0,1]
	v_pk_fma_f32 v[30:31], v[24:25], s[0:1], v[14:15] op_sel:[1,0,0] op_sel_hi:[0,0,1]
	v_pk_add_f32 v[8:9], v[32:33], v[8:9]
	v_pk_mul_f32 v[40:41], v[16:17], s[2:3] op_sel:[1,0] op_sel_hi:[0,0]
	v_pk_fma_f32 v[30:31], v[16:17], s[2:3], v[30:31] op_sel:[1,0,0] op_sel_hi:[0,0,1] neg_lo:[1,0,0] neg_hi:[1,0,0]
	v_pk_mul_f32 v[12:13], v[8:9], s[4:5] op_sel_hi:[1,0]
	v_pk_fma_f32 v[14:15], v[24:25], s[0:1], v[14:15] op_sel:[1,0,0] op_sel_hi:[0,0,1] neg_lo:[1,0,0] neg_hi:[1,0,0]
	v_add_f32_e32 v18, v12, v30
	v_add_f32_e32 v12, v41, v15
	v_mul_f32_e32 v44, 0xbf737871, v3
	v_mul_f32_e32 v3, 0x3e9e377a, v3
	v_add_f32_e32 v24, v13, v12
	v_pk_fma_f32 v[12:13], v[16:17], s[2:3], v[14:15] op_sel:[1,0,0] op_sel_hi:[0,0,1]
	v_fmac_f32_e32 v3, 0x3f737871, v51
	v_mov_b32_e32 v13, v31
	v_fmac_f32_e32 v72, v83, v84
	v_fmac_f32_e32 v44, 0x3e9e377a, v51
	v_pk_fma_f32 v[8:9], v[8:9], s[4:5], v[12:13] op_sel_hi:[1,0,1]
	v_add_f32_e32 v15, v24, v3
	v_add_f32_e32 v14, v18, v44
	v_pk_add_f32 v[12:13], v[8:9], v[10:11]
	v_pk_add_f32 v[8:9], v[8:9], v[10:11] neg_lo:[0,1] neg_hi:[0,1]
	v_mul_f32_e32 v10, v15, v72
	v_mul_f32_e32 v0, v95, v97
	;; [unrolled: 1-line block ×3, first 2 shown]
	v_fmac_f32_e32 v10, v14, v71
	v_mul_f32_e32 v11, v14, v72
	v_mul_f32_e32 v14, v13, v75
	v_fma_f32 v80, v94, v96, -v0
	v_fmac_f32_e32 v81, v95, v96
	v_mov_b32_e32 v0, v109
	v_sub_f32_e32 v3, v24, v3
	v_fmac_f32_e32 v14, v12, v73
	v_mul_f32_e32 v12, v12, v75
	v_pk_mul_f32 v[0:1], v[106:107], v[0:1] op_sel:[1,0] op_sel_hi:[0,1]
	v_sub_f32_e32 v16, v18, v44
	v_fma_f32 v11, v15, v71, -v11
	v_fma_f32 v15, v13, v73, -v12
	v_mul_f32_e32 v12, v3, v81
	v_pk_fma_f32 v[0:1], v[106:107], v[108:109], v[0:1] neg_lo:[0,0,1] neg_hi:[0,0,1]
	v_fmac_f32_e32 v12, v16, v80
	v_mul_f32_e32 v13, v16, v81
	v_pk_mul_f32 v[16:17], v[8:9], v[36:37] op_sel_hi:[1,0]
	s_movk_i32 s0, 0x90
	v_pk_fma_f32 v[24:25], v[8:9], v[0:1], v[16:17] op_sel:[0,0,1] op_sel_hi:[1,1,0]
	v_pk_fma_f32 v[0:1], v[8:9], v[0:1], v[16:17] op_sel:[0,0,1] op_sel_hi:[1,0,0] neg_lo:[0,0,1] neg_hi:[0,0,1]
	v_pk_fma_f32 v[34:35], v[102:103], v[104:105], v[34:35] neg_lo:[0,0,1] neg_hi:[0,0,1]
	v_lshrrev_b32_e32 v0, 4, v138
	v_pk_mul_f32 v[8:9], v[4:5], v[38:39] op_sel_hi:[1,0]
	v_mad_u32_u24 v0, v0, s0, v138
	v_pk_fma_f32 v[16:17], v[4:5], v[34:35], v[8:9] op_sel:[0,0,1] op_sel_hi:[1,1,0]
	v_pk_fma_f32 v[4:5], v[4:5], v[34:35], v[8:9] op_sel:[0,0,1] op_sel_hi:[1,0,0] neg_lo:[0,0,1] neg_hi:[0,0,1]
	v_mad_u64_u32 v[8:9], s[0:1], s10, v0, v[2:3]
	v_mov_b32_e32 v9, 0
	v_fma_f32 v13, v3, v80, -v13
	v_lshl_add_u64 v[30:31], v[8:9], 3, s[8:9]
	v_add_u32_e32 v3, 16, v0
	global_store_dwordx2 v[30:31], v[6:7], off
	v_mad_u64_u32 v[6:7], s[0:1], s10, v3, v[2:3]
	v_mov_b32_e32 v7, v9
	v_lshl_add_u64 v[6:7], v[6:7], 3, s[8:9]
	v_add_u32_e32 v3, 32, v0
	global_store_dwordx2 v[6:7], v[22:23], off
	v_mad_u64_u32 v[6:7], s[0:1], s10, v3, v[2:3]
	v_mov_b32_e32 v7, v9
	v_lshl_add_u64 v[6:7], v[6:7], 3, s[8:9]
	v_add_u32_e32 v3, 48, v0
	global_store_dwordx2 v[6:7], v[10:11], off
	v_mad_u64_u32 v[6:7], s[0:1], s10, v3, v[2:3]
	v_mov_b32_e32 v7, v9
	v_lshl_add_u64 v[6:7], v[6:7], 3, s[8:9]
	v_add_u32_e32 v3, 64, v0
	global_store_dwordx2 v[6:7], v[14:15], off
	v_mad_u64_u32 v[6:7], s[0:1], s10, v3, v[2:3]
	v_mov_b32_e32 v7, v9
	v_lshl_add_u64 v[6:7], v[6:7], 3, s[8:9]
	v_add_u32_e32 v3, 0x50, v0
	global_store_dwordx2 v[6:7], v[26:27], off
	v_mad_u64_u32 v[6:7], s[0:1], s10, v3, v[2:3]
	v_mov_b32_e32 v7, v9
	v_lshl_add_u64 v[6:7], v[6:7], 3, s[8:9]
	v_mov_b32_e32 v29, v19
	v_add_u32_e32 v3, 0x60, v0
	global_store_dwordx2 v[6:7], v[28:29], off
	v_mad_u64_u32 v[6:7], s[0:1], s10, v3, v[2:3]
	v_mov_b32_e32 v7, v9
	v_lshl_add_u64 v[6:7], v[6:7], 3, s[8:9]
	v_add_u32_e32 v3, 0x70, v0
	global_store_dwordx2 v[6:7], v[20:21], off
	v_mad_u64_u32 v[6:7], s[0:1], s10, v3, v[2:3]
	v_mov_b32_e32 v7, v9
	v_lshl_add_u64 v[6:7], v[6:7], 3, s[8:9]
	v_add_u32_e32 v3, 0x80, v0
	v_add_u32_e32 v0, 0x90, v0
	global_store_dwordx2 v[6:7], v[12:13], off
	v_mad_u64_u32 v[6:7], s[0:1], s10, v3, v[2:3]
	v_mov_b32_e32 v25, v1
	v_mad_u64_u32 v[0:1], s[0:1], s10, v0, v[2:3]
	v_mov_b32_e32 v7, v9
	v_mov_b32_e32 v1, v9
	v_lshl_add_u64 v[6:7], v[6:7], 3, s[8:9]
	v_lshl_add_u64 v[0:1], v[0:1], 3, s[8:9]
	v_mov_b32_e32 v17, v5
	global_store_dwordx2 v[6:7], v[24:25], off
	global_store_dwordx2 v[0:1], v[16:17], off
.LBB0_44:
	s_endpgm
	.section	.rodata,"a",@progbits
	.p2align	6, 0x0
	.amdhsa_kernel fft_rtc_back_len160_factors_2_8_10_wgs_200_tpt_10_dim3_sp_ip_CI_sbcc_twdbase8_2step_dirReg_intrinsicReadWrite
		.amdhsa_group_segment_fixed_size 0
		.amdhsa_private_segment_fixed_size 0
		.amdhsa_kernarg_size 88
		.amdhsa_user_sgpr_count 2
		.amdhsa_user_sgpr_dispatch_ptr 0
		.amdhsa_user_sgpr_queue_ptr 0
		.amdhsa_user_sgpr_kernarg_segment_ptr 1
		.amdhsa_user_sgpr_dispatch_id 0
		.amdhsa_user_sgpr_kernarg_preload_length 0
		.amdhsa_user_sgpr_kernarg_preload_offset 0
		.amdhsa_user_sgpr_private_segment_size 0
		.amdhsa_uses_dynamic_stack 0
		.amdhsa_enable_private_segment 0
		.amdhsa_system_sgpr_workgroup_id_x 1
		.amdhsa_system_sgpr_workgroup_id_y 0
		.amdhsa_system_sgpr_workgroup_id_z 0
		.amdhsa_system_sgpr_workgroup_info 0
		.amdhsa_system_vgpr_workitem_id 0
		.amdhsa_next_free_vgpr 192
		.amdhsa_next_free_sgpr 26
		.amdhsa_accum_offset 192
		.amdhsa_reserve_vcc 1
		.amdhsa_float_round_mode_32 0
		.amdhsa_float_round_mode_16_64 0
		.amdhsa_float_denorm_mode_32 3
		.amdhsa_float_denorm_mode_16_64 3
		.amdhsa_dx10_clamp 1
		.amdhsa_ieee_mode 1
		.amdhsa_fp16_overflow 0
		.amdhsa_tg_split 0
		.amdhsa_exception_fp_ieee_invalid_op 0
		.amdhsa_exception_fp_denorm_src 0
		.amdhsa_exception_fp_ieee_div_zero 0
		.amdhsa_exception_fp_ieee_overflow 0
		.amdhsa_exception_fp_ieee_underflow 0
		.amdhsa_exception_fp_ieee_inexact 0
		.amdhsa_exception_int_div_zero 0
	.end_amdhsa_kernel
	.text
.Lfunc_end0:
	.size	fft_rtc_back_len160_factors_2_8_10_wgs_200_tpt_10_dim3_sp_ip_CI_sbcc_twdbase8_2step_dirReg_intrinsicReadWrite, .Lfunc_end0-fft_rtc_back_len160_factors_2_8_10_wgs_200_tpt_10_dim3_sp_ip_CI_sbcc_twdbase8_2step_dirReg_intrinsicReadWrite
                                        ; -- End function
	.section	.AMDGPU.csdata,"",@progbits
; Kernel info:
; codeLenInByte = 8976
; NumSgprs: 32
; NumVgprs: 192
; NumAgprs: 0
; TotalNumVgprs: 192
; ScratchSize: 0
; MemoryBound: 0
; FloatMode: 240
; IeeeMode: 1
; LDSByteSize: 0 bytes/workgroup (compile time only)
; SGPRBlocks: 3
; VGPRBlocks: 23
; NumSGPRsForWavesPerEU: 32
; NumVGPRsForWavesPerEU: 192
; AccumOffset: 192
; Occupancy: 2
; WaveLimiterHint : 1
; COMPUTE_PGM_RSRC2:SCRATCH_EN: 0
; COMPUTE_PGM_RSRC2:USER_SGPR: 2
; COMPUTE_PGM_RSRC2:TRAP_HANDLER: 0
; COMPUTE_PGM_RSRC2:TGID_X_EN: 1
; COMPUTE_PGM_RSRC2:TGID_Y_EN: 0
; COMPUTE_PGM_RSRC2:TGID_Z_EN: 0
; COMPUTE_PGM_RSRC2:TIDIG_COMP_CNT: 0
; COMPUTE_PGM_RSRC3_GFX90A:ACCUM_OFFSET: 47
; COMPUTE_PGM_RSRC3_GFX90A:TG_SPLIT: 0
	.text
	.p2alignl 6, 3212836864
	.fill 256, 4, 3212836864
	.type	__hip_cuid_c2cabcacd9c13571,@object ; @__hip_cuid_c2cabcacd9c13571
	.section	.bss,"aw",@nobits
	.globl	__hip_cuid_c2cabcacd9c13571
__hip_cuid_c2cabcacd9c13571:
	.byte	0                               ; 0x0
	.size	__hip_cuid_c2cabcacd9c13571, 1

	.ident	"AMD clang version 19.0.0git (https://github.com/RadeonOpenCompute/llvm-project roc-6.4.0 25133 c7fe45cf4b819c5991fe208aaa96edf142730f1d)"
	.section	".note.GNU-stack","",@progbits
	.addrsig
	.addrsig_sym __hip_cuid_c2cabcacd9c13571
	.amdgpu_metadata
---
amdhsa.kernels:
  - .agpr_count:     0
    .args:
      - .actual_access:  read_only
        .address_space:  global
        .offset:         0
        .size:           8
        .value_kind:     global_buffer
      - .address_space:  global
        .offset:         8
        .size:           8
        .value_kind:     global_buffer
      - .actual_access:  read_only
        .address_space:  global
        .offset:         16
        .size:           8
        .value_kind:     global_buffer
      - .actual_access:  read_only
        .address_space:  global
        .offset:         24
        .size:           8
        .value_kind:     global_buffer
      - .offset:         32
        .size:           8
        .value_kind:     by_value
      - .actual_access:  read_only
        .address_space:  global
        .offset:         40
        .size:           8
        .value_kind:     global_buffer
      - .actual_access:  read_only
        .address_space:  global
        .offset:         48
        .size:           8
        .value_kind:     global_buffer
      - .offset:         56
        .size:           4
        .value_kind:     by_value
      - .actual_access:  read_only
        .address_space:  global
        .offset:         64
        .size:           8
        .value_kind:     global_buffer
      - .actual_access:  read_only
        .address_space:  global
        .offset:         72
        .size:           8
        .value_kind:     global_buffer
      - .address_space:  global
        .offset:         80
        .size:           8
        .value_kind:     global_buffer
    .group_segment_fixed_size: 0
    .kernarg_segment_align: 8
    .kernarg_segment_size: 88
    .language:       OpenCL C
    .language_version:
      - 2
      - 0
    .max_flat_workgroup_size: 200
    .name:           fft_rtc_back_len160_factors_2_8_10_wgs_200_tpt_10_dim3_sp_ip_CI_sbcc_twdbase8_2step_dirReg_intrinsicReadWrite
    .private_segment_fixed_size: 0
    .sgpr_count:     32
    .sgpr_spill_count: 0
    .symbol:         fft_rtc_back_len160_factors_2_8_10_wgs_200_tpt_10_dim3_sp_ip_CI_sbcc_twdbase8_2step_dirReg_intrinsicReadWrite.kd
    .uniform_work_group_size: 1
    .uses_dynamic_stack: false
    .vgpr_count:     192
    .vgpr_spill_count: 0
    .wavefront_size: 64
amdhsa.target:   amdgcn-amd-amdhsa--gfx950
amdhsa.version:
  - 1
  - 2
...

	.end_amdgpu_metadata
